;; amdgpu-corpus repo=ROCm/rocSOLVER kind=compiled arch=gfx1100 opt=O3
	.text
	.amdgcn_target "amdgcn-amd-amdhsa--gfx1100"
	.amdhsa_code_object_version 6
	.section	.text._ZN9rocsolver6v33100L10reset_infoIiiiEEvPT_T0_T1_S4_,"axG",@progbits,_ZN9rocsolver6v33100L10reset_infoIiiiEEvPT_T0_T1_S4_,comdat
	.globl	_ZN9rocsolver6v33100L10reset_infoIiiiEEvPT_T0_T1_S4_ ; -- Begin function _ZN9rocsolver6v33100L10reset_infoIiiiEEvPT_T0_T1_S4_
	.p2align	8
	.type	_ZN9rocsolver6v33100L10reset_infoIiiiEEvPT_T0_T1_S4_,@function
_ZN9rocsolver6v33100L10reset_infoIiiiEEvPT_T0_T1_S4_: ; @_ZN9rocsolver6v33100L10reset_infoIiiiEEvPT_T0_T1_S4_
; %bb.0:
	s_clause 0x1
	s_load_b32 s2, s[0:1], 0x24
	s_load_b128 s[4:7], s[0:1], 0x8
	s_waitcnt lgkmcnt(0)
	s_and_b32 s2, s2, 0xffff
	s_delay_alu instid0(SALU_CYCLE_1) | instskip(SKIP_1) | instid1(VALU_DEP_1)
	v_mad_u64_u32 v[1:2], null, s15, s2, v[0:1]
	s_mov_b32 s2, exec_lo
	v_cmpx_gt_i32_e64 s4, v1
	s_cbranch_execz .LBB0_2
; %bb.1:
	s_load_b64 s[0:1], s[0:1], 0x0
	v_ashrrev_i32_e32 v2, 31, v1
	s_mov_b32 s2, s5
	s_delay_alu instid0(SALU_CYCLE_1) | instskip(NEXT) | instid1(VALU_DEP_2)
	v_mad_u64_u32 v[4:5], null, v1, s6, s[2:3]
	v_lshlrev_b64 v[2:3], 2, v[1:2]
	s_waitcnt lgkmcnt(0)
	s_delay_alu instid0(VALU_DEP_1) | instskip(NEXT) | instid1(VALU_DEP_2)
	v_add_co_u32 v0, vcc_lo, s0, v2
	v_add_co_ci_u32_e32 v1, vcc_lo, s1, v3, vcc_lo
	global_store_b32 v[0:1], v4, off
.LBB0_2:
	s_nop 0
	s_sendmsg sendmsg(MSG_DEALLOC_VGPRS)
	s_endpgm
	.section	.rodata,"a",@progbits
	.p2align	6, 0x0
	.amdhsa_kernel _ZN9rocsolver6v33100L10reset_infoIiiiEEvPT_T0_T1_S4_
		.amdhsa_group_segment_fixed_size 0
		.amdhsa_private_segment_fixed_size 0
		.amdhsa_kernarg_size 280
		.amdhsa_user_sgpr_count 15
		.amdhsa_user_sgpr_dispatch_ptr 0
		.amdhsa_user_sgpr_queue_ptr 0
		.amdhsa_user_sgpr_kernarg_segment_ptr 1
		.amdhsa_user_sgpr_dispatch_id 0
		.amdhsa_user_sgpr_private_segment_size 0
		.amdhsa_wavefront_size32 1
		.amdhsa_uses_dynamic_stack 0
		.amdhsa_enable_private_segment 0
		.amdhsa_system_sgpr_workgroup_id_x 1
		.amdhsa_system_sgpr_workgroup_id_y 0
		.amdhsa_system_sgpr_workgroup_id_z 0
		.amdhsa_system_sgpr_workgroup_info 0
		.amdhsa_system_vgpr_workitem_id 0
		.amdhsa_next_free_vgpr 6
		.amdhsa_next_free_sgpr 16
		.amdhsa_reserve_vcc 1
		.amdhsa_float_round_mode_32 0
		.amdhsa_float_round_mode_16_64 0
		.amdhsa_float_denorm_mode_32 3
		.amdhsa_float_denorm_mode_16_64 3
		.amdhsa_dx10_clamp 1
		.amdhsa_ieee_mode 1
		.amdhsa_fp16_overflow 0
		.amdhsa_workgroup_processor_mode 1
		.amdhsa_memory_ordered 1
		.amdhsa_forward_progress 0
		.amdhsa_shared_vgpr_count 0
		.amdhsa_exception_fp_ieee_invalid_op 0
		.amdhsa_exception_fp_denorm_src 0
		.amdhsa_exception_fp_ieee_div_zero 0
		.amdhsa_exception_fp_ieee_overflow 0
		.amdhsa_exception_fp_ieee_underflow 0
		.amdhsa_exception_fp_ieee_inexact 0
		.amdhsa_exception_int_div_zero 0
	.end_amdhsa_kernel
	.section	.text._ZN9rocsolver6v33100L10reset_infoIiiiEEvPT_T0_T1_S4_,"axG",@progbits,_ZN9rocsolver6v33100L10reset_infoIiiiEEvPT_T0_T1_S4_,comdat
.Lfunc_end0:
	.size	_ZN9rocsolver6v33100L10reset_infoIiiiEEvPT_T0_T1_S4_, .Lfunc_end0-_ZN9rocsolver6v33100L10reset_infoIiiiEEvPT_T0_T1_S4_
                                        ; -- End function
	.section	.AMDGPU.csdata,"",@progbits
; Kernel info:
; codeLenInByte = 136
; NumSgprs: 18
; NumVgprs: 6
; ScratchSize: 0
; MemoryBound: 0
; FloatMode: 240
; IeeeMode: 1
; LDSByteSize: 0 bytes/workgroup (compile time only)
; SGPRBlocks: 2
; VGPRBlocks: 0
; NumSGPRsForWavesPerEU: 18
; NumVGPRsForWavesPerEU: 6
; Occupancy: 16
; WaveLimiterHint : 0
; COMPUTE_PGM_RSRC2:SCRATCH_EN: 0
; COMPUTE_PGM_RSRC2:USER_SGPR: 15
; COMPUTE_PGM_RSRC2:TRAP_HANDLER: 0
; COMPUTE_PGM_RSRC2:TGID_X_EN: 1
; COMPUTE_PGM_RSRC2:TGID_Y_EN: 0
; COMPUTE_PGM_RSRC2:TGID_Z_EN: 0
; COMPUTE_PGM_RSRC2:TIDIG_COMP_CNT: 0
	.section	.text._ZN9rocsolver6v33100L12stein_kernelIffPfEEviPT0_lS4_lPiS4_lS5_lS5_lT1_iilS5_lS5_S4_S5_S3_S3_,"axG",@progbits,_ZN9rocsolver6v33100L12stein_kernelIffPfEEviPT0_lS4_lPiS4_lS5_lS5_lT1_iilS5_lS5_S4_S5_S3_S3_,comdat
	.globl	_ZN9rocsolver6v33100L12stein_kernelIffPfEEviPT0_lS4_lPiS4_lS5_lS5_lT1_iilS5_lS5_S4_S5_S3_S3_ ; -- Begin function _ZN9rocsolver6v33100L12stein_kernelIffPfEEviPT0_lS4_lPiS4_lS5_lS5_lT1_iilS5_lS5_S4_S5_S3_S3_
	.p2align	8
	.type	_ZN9rocsolver6v33100L12stein_kernelIffPfEEviPT0_lS4_lPiS4_lS5_lS5_lT1_iilS5_lS5_S4_S5_S3_S3_,@function
_ZN9rocsolver6v33100L12stein_kernelIffPfEEviPT0_lS4_lPiS4_lS5_lS5_lT1_iilS5_lS5_S4_S5_S3_S3_: ; @_ZN9rocsolver6v33100L12stein_kernelIffPfEEviPT0_lS4_lPiS4_lS5_lS5_lT1_iilS5_lS5_S4_S5_S3_S3_
; %bb.0:
	s_mov_b32 s46, s15
	s_load_b512 s[4:19], s[0:1], 0x8
	s_ashr_i32 s47, s46, 31
	s_delay_alu instid0(SALU_CYCLE_1)
	s_lshl_b64 s[20:21], s[46:47], 2
	s_waitcnt lgkmcnt(0)
	s_add_u32 s2, s12, s20
	s_addc_u32 s3, s13, s21
	s_load_b32 s12, s[2:3], 0x0
	s_waitcnt lgkmcnt(0)
	s_cmp_lt_i32 s12, 1
	s_cbranch_scc1 .LBB1_255
; %bb.1:
	s_clause 0x1
	s_load_b256 s[36:43], s[0:1], 0x70
	s_load_b128 s[28:31], s[0:1], 0x90
	s_mov_b64 s[44:45], 0
	s_waitcnt lgkmcnt(0)
	s_cmp_eq_u64 s[38:39], 0
	s_cbranch_scc1 .LBB1_3
; %bb.2:
	s_mul_i32 s2, s46, s41
	s_mul_hi_u32 s3, s46, s40
	s_mul_i32 s13, s47, s40
	s_add_i32 s2, s3, s2
	s_delay_alu instid0(SALU_CYCLE_1) | instskip(SKIP_1) | instid1(SALU_CYCLE_1)
	s_add_i32 s3, s2, s13
	s_mul_i32 s2, s46, s40
	s_lshl_b64 s[2:3], s[2:3], 2
	s_delay_alu instid0(SALU_CYCLE_1)
	s_add_u32 s44, s38, s2
	s_addc_u32 s45, s39, s3
.LBB1_3:
                                        ; implicit-def: $vgpr44 : SGPR spill to VGPR lane
	v_cmp_eq_u32_e64 s2, 0, v0
	v_writelane_b32 v44, s20, 0
	v_writelane_b32 v44, s21, 1
	s_delay_alu instid0(VALU_DEP_3)
	s_and_saveexec_b32 s3, s2
	s_cbranch_execz .LBB1_5
; %bb.4:
	v_mov_b32_e32 v1, 0
	ds_store_b32 v1, v1
.LBB1_5:
	s_or_b32 exec_lo, exec_lo, s3
	v_cmp_gt_u32_e32 vcc_lo, s12, v0
	s_cmp_lg_u64 s[44:45], 0
	v_lshlrev_b32_e32 v3, 2, v0
	s_cselect_b32 s22, -1, 0
	s_delay_alu instid0(SALU_CYCLE_1) | instskip(NEXT) | instid1(SALU_CYCLE_1)
	s_and_b32 s3, vcc_lo, s22
	s_and_saveexec_b32 s13, s3
	s_cbranch_execz .LBB1_8
; %bb.6:
	v_add_co_u32 v1, s3, s44, v3
	v_dual_mov_b32 v4, 0 :: v_dual_mov_b32 v5, v0
	v_add_co_ci_u32_e64 v2, null, s45, 0, s3
	s_mov_b32 s20, 0
.LBB1_7:                                ; =>This Inner Loop Header: Depth=1
	s_delay_alu instid0(VALU_DEP_2) | instskip(SKIP_2) | instid1(VALU_DEP_1)
	v_add_nc_u32_e32 v5, 0x100, v5
	flat_store_b32 v[1:2], v4
	v_add_co_u32 v1, s3, 0x400, v1
	v_add_co_ci_u32_e64 v2, s3, 0, v2, s3
	v_cmp_le_i32_e32 vcc_lo, s12, v5
	s_or_b32 s20, vcc_lo, s20
	s_delay_alu instid0(SALU_CYCLE_1)
	s_and_not1_b32 exec_lo, exec_lo, s20
	s_cbranch_execnz .LBB1_7
.LBB1_8:
	v_writelane_b32 v44, s36, 2
	v_writelane_b32 v44, s37, 3
	;; [unrolled: 1-line block ×8, first 2 shown]
	s_or_b32 exec_lo, exec_lo, s13
	s_load_b256 s[36:43], s[0:1], 0x48
	s_mov_b32 s23, 0
	v_mov_b32_e32 v21, 0
	s_waitcnt lgkmcnt(0)
	s_mul_i32 s3, s46, s37
	s_mul_hi_u32 s13, s46, s36
	s_mul_i32 s21, s47, s36
	s_add_i32 s3, s13, s3
	s_mul_i32 s20, s46, s36
	s_add_i32 s21, s3, s21
	s_mov_b32 s13, s23
	s_lshl_b64 s[20:21], s[20:21], 2
	s_delay_alu instid0(SALU_CYCLE_1) | instskip(SKIP_2) | instid1(SALU_CYCLE_1)
	s_add_u32 s33, s18, s20
	s_addc_u32 s78, s19, s21
	s_lshl_b64 s[18:19], s[12:13], 2
	s_add_u32 s18, s33, s18
	s_addc_u32 s19, s78, s19
	global_load_b32 v7, v21, s[18:19] offset:-4
	s_waitcnt vmcnt(0)
	v_cmp_gt_i32_e32 vcc_lo, 1, v7
	s_cbranch_vccnz .LBB1_253
; %bb.9:
	s_load_b32 s24, s[0:1], 0x0
	s_mul_i32 s3, s46, s7
	s_mul_hi_u32 s7, s46, s6
	s_mul_i32 s13, s47, s6
	s_add_i32 s3, s7, s3
	s_mul_i32 s6, s46, s6
	s_add_i32 s7, s3, s13
	s_mul_i32 s21, s46, s11
	s_mul_hi_u32 s26, s46, s10
	s_mul_i32 s27, s47, s10
	s_mul_i32 s20, s46, s10
	s_clause 0x1
	s_load_b64 s[10:11], s[0:1], 0x68
	s_load_b64 s[36:37], s[0:1], 0xa0
	s_lshl_b64 s[0:1], s[6:7], 2
	s_mul_i32 s17, s46, s17
	s_mul_hi_u32 s34, s46, s16
	s_mul_i32 s3, s46, s41
	s_mul_i32 s6, s47, s40
	v_readlane_b32 s48, v44, 2
	v_readlane_b32 s49, v44, 3
	v_add3_u32 v24, 8, 0x800, v3
	s_waitcnt lgkmcnt(0)
	s_ashr_i32 s25, s24, 31
	s_add_u32 s13, s4, s0
	s_addc_u32 s79, s5, s1
	s_add_i32 s0, s26, s21
	s_mul_i32 s1, s47, s16
	s_add_i32 s21, s0, s27
	s_mul_i32 s0, s46, s16
	s_lshl_b64 s[4:5], s[20:21], 2
	s_mov_b64 s[20:21], s[48:49]
	s_add_u32 s80, s8, s4
	s_addc_u32 s81, s9, s5
	s_add_i32 s4, s34, s17
	s_mul_hi_u32 s5, s46, s40
	s_add_i32 s1, s4, s1
	s_mul_i32 s4, s46, s40
	s_lshl_b64 s[0:1], s[0:1], 2
	v_div_scale_f32 v1, null, s37, s37, 1.0
	s_add_u32 s82, s14, s0
	s_addc_u32 s83, s15, s1
	s_add_i32 s0, s5, s3
	s_mul_i32 s3, s24, 5
	s_add_i32 s5, s0, s6
	s_mul_hi_i32 s7, s3, s46
	s_lshl_b64 s[0:1], s[4:5], 2
	s_mul_i32 s6, s3, s46
	s_add_u32 s84, s38, s0
	s_addc_u32 s85, s39, s1
	s_lshl_b64 s[0:1], s[6:7], 2
	s_mul_hi_i32 s5, s24, s46
	s_mul_i32 s4, s24, s46
	s_add_u32 s14, s0, s28
	s_addc_u32 s15, s1, s29
	s_lshl_b64 s[0:1], s[4:5], 2
	s_mul_hi_u32 s3, s46, s20
	s_add_u32 s86, s30, s0
	s_mul_i32 s0, s46, s21
	v_rcp_f32_e32 v2, v1
	s_addc_u32 s87, s31, s1
	s_add_i32 s0, s3, s0
	s_mul_i32 s1, s47, s20
	s_ashr_i32 s5, s10, 31
	s_add_i32 s1, s0, s1
	s_mul_i32 s0, s46, s20
	s_mov_b32 s4, s10
	s_lshl_b64 s[0:1], s[0:1], 2
	s_mul_i32 s16, s24, 3
	s_add_u32 s3, s42, s0
	s_addc_u32 s8, s43, s1
	s_lshl_b64 s[0:1], s[4:5], 2
	s_waitcnt_depctr 0xfff
	v_fma_f32 v4, -v1, v2, 1.0
	s_add_u32 s10, s3, s0
	s_addc_u32 s88, s8, s1
	s_ashr_i32 s17, s16, 31
	v_add_nc_u32_e32 v23, 8, v3
	s_lshl_b64 s[0:1], s[16:17], 2
	v_fmac_f32_e32 v2, v4, v2
	v_div_scale_f32 v4, vcc_lo, 1.0, s37, 1.0
	s_add_u32 s20, s14, s0
	s_addc_u32 s21, s15, s1
	s_lshl_b64 s[8:9], s[24:25], 3
	s_delay_alu instid0(VALU_DEP_1)
	v_mul_f32_e32 v5, v4, v2
	s_sub_u32 s30, s20, s8
	s_subb_u32 s31, s21, s9
	s_lshl_b64 s[0:1], s[24:25], 2
	s_mul_i32 s5, s24, -12
	s_add_u32 s38, s30, s0
	s_addc_u32 s39, s31, s1
	s_add_u32 s40, s38, s8
	v_fma_f32 v8, -v1, v5, v4
	s_addc_u32 s41, s39, s9
	s_mul_hi_i32 s4, s24, -12
	s_add_u32 s5, s40, s5
	s_addc_u32 s4, s41, s4
	s_add_u32 s42, s5, 4
	s_addc_u32 s43, s4, 0
	s_and_b32 s25, s2, s22
	v_dual_fmac_f32 v5, v8, v2 :: v_dual_mov_b32 v26, 1.0
	s_add_u32 s89, s84, -4
	s_addc_u32 s90, s85, -1
	s_add_u32 s91, s13, -4
	s_addc_u32 s92, s79, -1
	s_add_u32 s93, s80, -8
	v_fma_f32 v1, -v1, v5, v4
	s_addc_u32 s94, s81, -1
	v_add_nc_u32_e32 v4, s24, v0
	s_add_u32 s95, s14, -4
	s_addc_u32 s96, s15, -1
	s_add_u32 s97, s80, 4
	s_addc_u32 s98, s81, 0
	v_max_f32_e64 v6, s36, s36
	v_div_fmas_f32 v1, v1, v2, v5
	s_add_u32 s99, s13, 4
	v_ashrrev_i32_e32 v5, 31, v4
	s_addc_u32 s100, s79, 0
	s_add_u32 s101, s14, 4
	s_addc_u32 s102, s15, 0
	s_lshl_b32 s103, s24, 1
	s_add_u32 s46, s20, 8
	v_dual_max_f32 v22, 0, v6 :: v_dual_mov_b32 v27, 1
	v_lshlrev_b64 v[5:6], 2, v[4:5]
	s_addc_u32 s47, s21, 0
	s_add_u32 s6, s6, s16
	v_div_fixup_f32 v25, v1, s37, 1.0
	v_add_co_u32 v1, s5, s14, v3
	s_addc_u32 s7, s7, s17
	v_add_co_ci_u32_e64 v2, null, s15, 0, s5
	v_add_co_u32 v3, s5, s20, v3
	s_lshl_b64 s[6:7], s[6:7], 2
	v_add_co_ci_u32_e64 v4, null, s21, 0, s5
	v_add_co_u32 v5, vcc_lo, s101, v5
	s_sub_u32 s5, s6, s8
	s_subb_u32 s6, s7, s9
	v_cmp_gt_u32_e64 s0, 0x80, v0
	v_cmp_gt_u32_e64 s1, 64, v0
	;; [unrolled: 1-line block ×3, first 2 shown]
	v_cmp_gt_i32_e64 s4, s24, v0
	v_add_co_ci_u32_e32 v6, vcc_lo, s102, v6, vcc_lo
	s_add_u32 s5, s5, s28
	v_mov_b32_e32 v28, 8
	v_readlane_b32 s50, v44, 4
	v_readlane_b32 s51, v44, 5
	s_addc_u32 s6, s6, s29
	v_readlane_b32 s52, v44, 6
	s_add_u32 s28, s5, 8
	s_mov_b32 s48, 0x9999999a
	s_mov_b32 s50, 0xff800000
	;; [unrolled: 1-line block ×4, first 2 shown]
	s_addc_u32 s29, s6, 0
	s_mov_b32 s52, s23
	s_mov_b32 s17, 0
	v_readlane_b32 s53, v44, 7
	v_readlane_b32 s54, v44, 8
	;; [unrolled: 1-line block ×3, first 2 shown]
                                        ; implicit-def: $vgpr29
                                        ; implicit-def: $vgpr32
                                        ; implicit-def: $vgpr33
                                        ; implicit-def: $sgpr104
                                        ; implicit-def: $vgpr30
	s_branch .LBB1_12
.LBB1_10:                               ;   in Loop: Header=BB1_12 Depth=1
	global_load_b32 v7, v21, s[18:19] offset:-4
	s_mov_b32 s17, s7
.LBB1_11:                               ;   in Loop: Header=BB1_12 Depth=1
	s_add_i32 s52, s52, 1
	s_waitcnt vmcnt(0)
	v_cmp_ge_i32_e32 vcc_lo, s52, v7
	s_cbranch_vccnz .LBB1_253
.LBB1_12:                               ; =>This Loop Header: Depth=1
                                        ;     Child Loop BB1_18 Depth 2
                                        ;     Child Loop BB1_23 Depth 2
                                        ;       Child Loop BB1_34 Depth 3
                                        ;       Child Loop BB1_37 Depth 3
	;; [unrolled: 1-line block ×5, first 2 shown]
                                        ;         Child Loop BB1_108 Depth 4
                                        ;         Child Loop BB1_111 Depth 4
	;; [unrolled: 1-line block ×4, first 2 shown]
                                        ;           Child Loop BB1_128 Depth 5
                                        ;         Child Loop BB1_140 Depth 4
                                        ;           Child Loop BB1_141 Depth 5
                                        ;           Child Loop BB1_143 Depth 5
                                        ;         Child Loop BB1_148 Depth 4
                                        ;       Child Loop BB1_191 Depth 3
                                        ;       Child Loop BB1_230 Depth 3
	;; [unrolled: 1-line block ×4, first 2 shown]
	s_cmp_eq_u32 s52, 0
	s_mov_b32 s54, 0
	s_cbranch_scc1 .LBB1_14
; %bb.13:                               ;   in Loop: Header=BB1_12 Depth=1
	s_mov_b32 s53, s23
	s_delay_alu instid0(SALU_CYCLE_1) | instskip(NEXT) | instid1(SALU_CYCLE_1)
	s_lshl_b64 s[6:7], s[52:53], 2
	s_add_u32 s6, s89, s6
	s_addc_u32 s7, s90, s7
	global_load_b32 v8, v21, s[6:7]
	s_mov_b64 s[6:7], s[52:53]
	s_waitcnt vmcnt(0)
	v_readfirstlane_b32 s54, v8
	s_branch .LBB1_15
.LBB1_14:                               ;   in Loop: Header=BB1_12 Depth=1
	s_mov_b64 s[6:7], 0
.LBB1_15:                               ;   in Loop: Header=BB1_12 Depth=1
	s_delay_alu instid0(SALU_CYCLE_1) | instskip(NEXT) | instid1(SALU_CYCLE_1)
	s_lshl_b64 s[6:7], s[6:7], 2
	s_add_u32 s6, s84, s6
	s_addc_u32 s7, s85, s7
	s_not_b32 s5, s54
	global_load_b32 v8, v21, s[6:7]
	s_waitcnt vmcnt(0)
	v_readfirstlane_b32 s56, v8
	v_subrev_nc_u32_e32 v31, s54, v8
	s_delay_alu instid0(VALU_DEP_2) | instskip(NEXT) | instid1(SALU_CYCLE_1)
	s_add_i32 s58, s5, s56
	s_cmp_lt_i32 s58, 1
	s_cselect_b32 s53, -1, 0
	s_delay_alu instid0(SALU_CYCLE_1)
	s_and_b32 vcc_lo, exec_lo, s53
	s_cbranch_vccnz .LBB1_20
; %bb.16:                               ;   in Loop: Header=BB1_12 Depth=1
	s_ashr_i32 s55, s54, 31
	s_delay_alu instid0(SALU_CYCLE_1) | instskip(NEXT) | instid1(SALU_CYCLE_1)
	s_lshl_b64 s[8:9], s[54:55], 2
	s_add_u32 s6, s13, s8
	s_addc_u32 s7, s79, s9
	s_add_u32 s26, s80, s8
	s_addc_u32 s27, s81, s9
	s_ashr_i32 s57, s56, 31
	s_delay_alu instid0(SALU_CYCLE_1) | instskip(NEXT) | instid1(SALU_CYCLE_1)
	s_lshl_b64 s[34:35], s[56:57], 2
	s_add_u32 s60, s91, s34
	s_addc_u32 s61, s92, s35
	s_add_i32 s5, s56, -2
	s_add_u32 s34, s93, s34
	s_addc_u32 s35, s94, s35
	s_clause 0x3
	global_load_b32 v9, v21, s[6:7]
	global_load_b32 v8, v21, s[26:27]
	;; [unrolled: 1-line block ×4, first 2 shown]
	s_cmp_ge_i32 s54, s5
	s_waitcnt vmcnt(2)
	v_add_f32_e64 v9, |v9|, |v8|
	s_waitcnt vmcnt(0)
	v_add_f32_e64 v10, |v10|, |v11|
	s_delay_alu instid0(VALU_DEP_1)
	v_cmp_lt_f32_e32 vcc_lo, v9, v10
	v_cndmask_b32_e32 v30, v9, v10, vcc_lo
	s_cbranch_scc1 .LBB1_19
; %bb.17:                               ;   in Loop: Header=BB1_12 Depth=1
	s_add_u32 s6, s97, s8
	s_addc_u32 s7, s98, s9
	s_add_u32 s8, s99, s8
	s_addc_u32 s9, s100, s9
	s_mov_b32 s22, s54
	.p2align	6
.LBB1_18:                               ;   Parent Loop BB1_12 Depth=1
                                        ; =>  This Inner Loop Header: Depth=2
	global_load_b32 v9, v21, s[8:9]
	s_add_i32 s22, s22, 1
	s_waitcnt vmcnt(0)
	v_add_f32_e64 v9, |v8|, |v9|
	global_load_b32 v8, v21, s[6:7]
	s_add_u32 s6, s6, 4
	s_addc_u32 s7, s7, 0
	s_add_u32 s8, s8, 4
	s_addc_u32 s9, s9, 0
	s_cmp_lt_i32 s22, s5
	s_waitcnt vmcnt(0)
	v_add_f32_e64 v9, v9, |v8|
	s_delay_alu instid0(VALU_DEP_1)
	v_cmp_lt_f32_e32 vcc_lo, v30, v9
	v_cndmask_b32_e32 v30, v30, v9, vcc_lo
	s_cbranch_scc1 .LBB1_18
.LBB1_19:                               ;   in Loop: Header=BB1_12 Depth=1
	v_cvt_f64_u32_e32 v[8:9], v31
	s_mov_b32 s104, s17
	s_delay_alu instid0(VALU_DEP_2) | instskip(NEXT) | instid1(VALU_DEP_2)
	v_mul_f32_e32 v33, 0x3a83126f, v30
	v_div_scale_f64 v[10:11], null, v[8:9], v[8:9], s[48:49]
	v_div_scale_f64 v[16:17], vcc_lo, s[48:49], v[8:9], s[48:49]
	s_delay_alu instid0(VALU_DEP_2) | instskip(SKIP_2) | instid1(VALU_DEP_1)
	v_rcp_f64_e32 v[12:13], v[10:11]
	s_waitcnt_depctr 0xfff
	v_fma_f64 v[14:15], -v[10:11], v[12:13], 1.0
	v_fma_f64 v[12:13], v[12:13], v[14:15], v[12:13]
	s_delay_alu instid0(VALU_DEP_1) | instskip(NEXT) | instid1(VALU_DEP_1)
	v_fma_f64 v[14:15], -v[10:11], v[12:13], 1.0
	v_fma_f64 v[12:13], v[12:13], v[14:15], v[12:13]
	s_delay_alu instid0(VALU_DEP_1) | instskip(NEXT) | instid1(VALU_DEP_1)
	v_mul_f64 v[14:15], v[16:17], v[12:13]
	v_fma_f64 v[10:11], -v[10:11], v[14:15], v[16:17]
	s_delay_alu instid0(VALU_DEP_1) | instskip(NEXT) | instid1(VALU_DEP_1)
	v_div_fmas_f64 v[10:11], v[10:11], v[12:13], v[14:15]
	v_div_fixup_f64 v[8:9], v[10:11], v[8:9], s[48:49]
	s_delay_alu instid0(VALU_DEP_1) | instskip(SKIP_3) | instid1(VALU_DEP_1)
	v_cmp_gt_f64_e32 vcc_lo, 0x10000000, v[8:9]
	v_cndmask_b32_e64 v10, 0, 1, vcc_lo
	s_and_b32 s5, vcc_lo, exec_lo
	s_cselect_b32 s5, 0xffffff80, 0
	v_lshlrev_b32_e32 v10, 8, v10
	s_delay_alu instid0(VALU_DEP_1) | instskip(NEXT) | instid1(VALU_DEP_1)
	v_ldexp_f64 v[8:9], v[8:9], v10
	v_rsq_f64_e32 v[10:11], v[8:9]
	v_cmp_class_f64_e64 vcc_lo, v[8:9], 0x260
	s_waitcnt_depctr 0xfff
	v_mul_f64 v[12:13], v[8:9], v[10:11]
	v_mul_f64 v[10:11], v[10:11], 0.5
	s_delay_alu instid0(VALU_DEP_1) | instskip(NEXT) | instid1(VALU_DEP_1)
	v_fma_f64 v[14:15], -v[10:11], v[12:13], 0.5
	v_fma_f64 v[12:13], v[12:13], v[14:15], v[12:13]
	v_fma_f64 v[10:11], v[10:11], v[14:15], v[10:11]
	s_delay_alu instid0(VALU_DEP_2) | instskip(NEXT) | instid1(VALU_DEP_1)
	v_fma_f64 v[14:15], -v[12:13], v[12:13], v[8:9]
	v_fma_f64 v[12:13], v[14:15], v[10:11], v[12:13]
	s_delay_alu instid0(VALU_DEP_1) | instskip(NEXT) | instid1(VALU_DEP_1)
	v_fma_f64 v[14:15], -v[12:13], v[12:13], v[8:9]
	v_fma_f64 v[10:11], v[14:15], v[10:11], v[12:13]
	s_delay_alu instid0(VALU_DEP_1) | instskip(NEXT) | instid1(VALU_DEP_1)
	v_ldexp_f64 v[10:11], v[10:11], s5
	v_dual_cndmask_b32 v9, v11, v9 :: v_dual_cndmask_b32 v8, v10, v8
	s_delay_alu instid0(VALU_DEP_1)
	v_cvt_f32_f64_e32 v32, v[8:9]
.LBB1_20:                               ;   in Loop: Header=BB1_12 Depth=1
	s_cmp_ge_i32 s17, s12
	s_cbranch_scc1 .LBB1_11
; %bb.21:                               ;   in Loop: Header=BB1_12 Depth=1
	s_ashr_i32 s57, s56, 31
	v_cvt_f32_u32_e32 v11, v31
	s_lshl_b64 s[6:7], s[56:57], 2
	v_add_nc_u32_e32 v7, s54, v0
	s_add_u32 s60, s91, s6
	s_addc_u32 s61, s92, s7
	v_mul_f32_e32 v34, v30, v11
	s_add_i32 s6, s58, s16
	v_ashrrev_i32_e32 v8, 31, v7
	s_ashr_i32 s7, s6, 31
	s_mov_b32 s59, s23
	s_lshl_b64 s[6:7], s[6:7], 2
	v_cmp_ge_i32_e64 s5, s58, v0
	s_add_u32 s62, s14, s6
	s_addc_u32 s63, s15, s7
	s_lshl_b64 s[8:9], s[58:59], 2
	v_lshlrev_b64 v[9:10], 2, v[7:8]
	s_add_u32 s64, s86, s8
	s_addc_u32 s65, s87, s9
	s_add_i32 s59, s58, -1
	s_add_u32 s66, s20, s8
	s_addc_u32 s67, s21, s9
	s_cmp_lg_u32 s58, 1
	v_add_co_u32 v7, vcc_lo, s13, v9
	s_cselect_b32 vcc_hi, -1, 0
	v_add_co_ci_u32_e32 v8, vcc_lo, s79, v10, vcc_lo
	s_ashr_i32 s55, s54, 31
	v_add_co_u32 v9, vcc_lo, s80, v9
	s_lshl_b64 s[8:9], s[54:55], 2
	v_add_co_ci_u32_e32 v10, vcc_lo, s81, v10, vcc_lo
	v_sub_co_u32 v11, vcc_lo, v1, s8
	v_cmp_gt_i32_e64 s6, s58, v0
	v_subrev_co_ci_u32_e32 v12, vcc_lo, s9, v2, vcc_lo
	v_mov_b32_e32 v35, v29
	s_mul_i32 s57, s52, s12
	s_sub_i32 s26, s56, s54
	s_mul_i32 s27, s11, s17
	s_mov_b32 s55, 0
	s_mov_b32 s68, s17
	s_branch .LBB1_23
.LBB1_22:                               ;   in Loop: Header=BB1_23 Depth=2
	s_set_inst_prefetch_distance 0x2
	s_or_b32 exec_lo, exec_lo, s8
	s_add_i32 s68, s68, 1
	s_add_i32 s55, s55, 1
	;; [unrolled: 1-line block ×3, first 2 shown]
	v_mov_b32_e32 v35, v29
	s_cmp_ge_i32 s68, s12
	s_mov_b32 s7, s17
	s_cselect_b32 s8, -1, 0
	s_waitcnt_vscnt null, 0x0
	s_barrier
	buffer_gl0_inv
	s_and_b32 vcc_lo, exec_lo, s8
	s_cbranch_vccnz .LBB1_10
.LBB1_23:                               ;   Parent Loop BB1_12 Depth=1
                                        ; =>  This Loop Header: Depth=2
                                        ;       Child Loop BB1_34 Depth 3
                                        ;       Child Loop BB1_37 Depth 3
	;; [unrolled: 1-line block ×5, first 2 shown]
                                        ;         Child Loop BB1_108 Depth 4
                                        ;         Child Loop BB1_111 Depth 4
	;; [unrolled: 1-line block ×4, first 2 shown]
                                        ;           Child Loop BB1_128 Depth 5
                                        ;         Child Loop BB1_140 Depth 4
                                        ;           Child Loop BB1_141 Depth 5
                                        ;           Child Loop BB1_143 Depth 5
                                        ;         Child Loop BB1_148 Depth 4
                                        ;       Child Loop BB1_191 Depth 3
                                        ;       Child Loop BB1_230 Depth 3
	;; [unrolled: 1-line block ×4, first 2 shown]
	s_ashr_i32 s69, s68, 31
	s_delay_alu instid0(SALU_CYCLE_1) | instskip(NEXT) | instid1(SALU_CYCLE_1)
	s_lshl_b64 s[8:9], s[68:69], 2
	s_add_u32 s34, s33, s8
	s_addc_u32 s35, s78, s9
	global_load_b32 v13, v21, s[34:35]
	s_waitcnt vmcnt(0)
	v_add_nc_u32_e32 v13, -1, v13
	s_delay_alu instid0(VALU_DEP_1)
	v_cmp_ne_u32_e32 vcc_lo, s52, v13
	s_cbranch_vccnz .LBB1_28
; %bb.24:                               ;   in Loop: Header=BB1_23 Depth=2
	s_add_u32 s8, s82, s8
	s_addc_u32 s9, s83, s9
	s_and_b32 vcc_lo, exec_lo, s53
	global_load_b32 v29, v21, s[8:9]
	s_cbranch_vccz .LBB1_29
; %bb.25:                               ;   in Loop: Header=BB1_23 Depth=2
	s_and_saveexec_b32 s7, s2
	s_cbranch_execz .LBB1_27
; %bb.26:                               ;   in Loop: Header=BB1_23 Depth=2
	global_store_b32 v21, v26, s[14:15]
.LBB1_27:                               ;   in Loop: Header=BB1_23 Depth=2
	s_or_b32 exec_lo, exec_lo, s7
	s_waitcnt vmcnt(0)
	s_waitcnt_vscnt null, 0x0
	s_barrier
	s_branch .LBB1_248
.LBB1_28:                               ;   in Loop: Header=BB1_23 Depth=2
	v_mov_b32_e32 v29, v35
	s_mov_b32 s7, s68
                                        ; implicit-def: $sgpr55
                                        ; implicit-def: $sgpr27
	s_cbranch_execz .LBB1_23
	s_branch .LBB1_10
.LBB1_29:                               ;   in Loop: Header=BB1_23 Depth=2
	s_cbranch_execz .LBB1_248
; %bb.30:                               ;   in Loop: Header=BB1_23 Depth=2
	s_add_i32 s7, s68, s57
	s_delay_alu instid0(SALU_CYCLE_1) | instskip(SKIP_1) | instid1(VALU_DEP_1)
	v_lshl_or_b32 v13, s7, 8, v0
	s_mov_b32 s7, exec_lo
	v_add_nc_u32_e32 v14, 1, v13
	s_delay_alu instid0(VALU_DEP_1) | instskip(NEXT) | instid1(VALU_DEP_1)
	v_mul_hi_i32 v15, 0x40000001, v14
	v_lshrrev_b32_e32 v16, 31, v15
	v_ashrrev_i32_e32 v15, 29, v15
	s_delay_alu instid0(VALU_DEP_1) | instskip(NEXT) | instid1(VALU_DEP_1)
	v_add_nc_u32_e32 v15, v15, v16
	v_mul_lo_u32 v15, 0x7fffffff, v15
	s_delay_alu instid0(VALU_DEP_1) | instskip(NEXT) | instid1(VALU_DEP_1)
	v_sub_nc_u32_e32 v14, v14, v15
	v_max_i32_e32 v15, 1, v14
	s_delay_alu instid0(VALU_DEP_1)
	v_mov_b32_e32 v16, v15
	v_cmpx_ne_u32_e32 0x7ffffffe, v13
; %bb.31:                               ;   in Loop: Header=BB1_23 Depth=2
	v_sub_nc_u32_e32 v13, 0x7ffffffe, v13
	s_delay_alu instid0(VALU_DEP_1) | instskip(NEXT) | instid1(VALU_DEP_1)
	v_mul_hi_i32 v14, 0x4000007d, v13
	v_lshrrev_b32_e32 v16, 31, v14
	v_ashrrev_i32_e32 v14, 29, v14
	s_delay_alu instid0(VALU_DEP_1) | instskip(NEXT) | instid1(VALU_DEP_1)
	v_add_nc_u32_e32 v14, v14, v16
	v_mul_lo_u32 v14, 0x7fffff07, v14
	s_delay_alu instid0(VALU_DEP_1) | instskip(NEXT) | instid1(VALU_DEP_1)
	v_sub_nc_u32_e32 v13, v13, v14
	v_max_i32_e32 v16, 1, v13
; %bb.32:                               ;   in Loop: Header=BB1_23 Depth=2
	s_or_b32 exec_lo, exec_lo, s7
	s_and_saveexec_b32 s8, s5
	s_cbranch_execz .LBB1_35
; %bb.33:                               ;   in Loop: Header=BB1_23 Depth=2
	v_dual_mov_b32 v14, v2 :: v_dual_mov_b32 v13, v1
	v_mov_b32_e32 v17, v0
	s_mov_b32 s9, 0
.LBB1_34:                               ;   Parent Loop BB1_12 Depth=1
                                        ;     Parent Loop BB1_23 Depth=2
                                        ; =>    This Inner Loop Header: Depth=3
	v_mul_hi_i32 v18, 0x5e4789c9, v15
	v_mul_hi_i32 v19, 0x4f7a09cd, v16
	s_delay_alu instid0(VALU_DEP_3) | instskip(NEXT) | instid1(VALU_DEP_3)
	v_add_nc_u32_e32 v17, 0x100, v17
	v_lshrrev_b32_e32 v20, 31, v18
	v_ashrrev_i32_e32 v18, 14, v18
	s_delay_alu instid0(VALU_DEP_4) | instskip(SKIP_1) | instid1(VALU_DEP_3)
	v_lshrrev_b32_e32 v36, 31, v19
	v_ashrrev_i32_e32 v19, 14, v19
	v_add_nc_u32_e32 v18, v18, v20
	s_delay_alu instid0(VALU_DEP_2) | instskip(NEXT) | instid1(VALU_DEP_2)
	v_add_nc_u32_e32 v19, v19, v36
	v_mul_i32_i24_e32 v20, 0xadc8, v18
	s_delay_alu instid0(VALU_DEP_2) | instskip(NEXT) | instid1(VALU_DEP_2)
	v_mul_i32_i24_e32 v36, 0xce26, v19
	v_sub_nc_u32_e32 v15, v15, v20
	s_delay_alu instid0(VALU_DEP_2) | instskip(NEXT) | instid1(VALU_DEP_2)
	v_sub_nc_u32_e32 v16, v16, v36
	v_mul_lo_u32 v15, 0xbc8f, v15
	s_delay_alu instid0(VALU_DEP_2) | instskip(NEXT) | instid1(VALU_DEP_2)
	v_mul_lo_u32 v16, 0x9ef4, v16
	v_mad_i32_i24 v15, 0xfffff2b9, v18, v15
	s_delay_alu instid0(VALU_DEP_2) | instskip(NEXT) | instid1(VALU_DEP_2)
	v_mad_i32_i24 v16, 0xfffff131, v19, v16
	v_ashrrev_i32_e32 v18, 31, v15
	s_delay_alu instid0(VALU_DEP_2) | instskip(NEXT) | instid1(VALU_DEP_2)
	v_ashrrev_i32_e32 v19, 31, v16
	v_and_b32_e32 v18, 0x7fffffff, v18
	s_delay_alu instid0(VALU_DEP_2) | instskip(NEXT) | instid1(VALU_DEP_2)
	v_and_b32_e32 v19, 0x7fffff07, v19
	v_add_nc_u32_e32 v15, v18, v15
	s_delay_alu instid0(VALU_DEP_2) | instskip(NEXT) | instid1(VALU_DEP_1)
	v_add_nc_u32_e32 v16, v19, v16
	v_sub_nc_u32_e32 v18, v15, v16
	s_delay_alu instid0(VALU_DEP_1) | instskip(NEXT) | instid1(VALU_DEP_1)
	v_ashrrev_i32_e32 v19, 31, v18
	v_and_b32_e32 v19, 0x7fffffff, v19
	s_delay_alu instid0(VALU_DEP_1) | instskip(NEXT) | instid1(VALU_DEP_1)
	v_add_nc_u32_e32 v18, v19, v18
	v_cvt_f64_i32_e32 v[18:19], v18
	s_delay_alu instid0(VALU_DEP_1) | instskip(SKIP_1) | instid1(VALU_DEP_2)
	v_div_scale_f64 v[36:37], null, s[50:51], s[50:51], v[18:19]
	v_div_scale_f64 v[42:43], vcc_lo, v[18:19], s[50:51], v[18:19]
	v_rcp_f64_e32 v[38:39], v[36:37]
	s_waitcnt_depctr 0xfff
	v_fma_f64 v[40:41], -v[36:37], v[38:39], 1.0
	s_delay_alu instid0(VALU_DEP_1) | instskip(NEXT) | instid1(VALU_DEP_1)
	v_fma_f64 v[38:39], v[38:39], v[40:41], v[38:39]
	v_fma_f64 v[40:41], -v[36:37], v[38:39], 1.0
	s_delay_alu instid0(VALU_DEP_1) | instskip(NEXT) | instid1(VALU_DEP_1)
	v_fma_f64 v[38:39], v[38:39], v[40:41], v[38:39]
	v_mul_f64 v[40:41], v[42:43], v[38:39]
	s_delay_alu instid0(VALU_DEP_1) | instskip(NEXT) | instid1(VALU_DEP_1)
	v_fma_f64 v[36:37], -v[36:37], v[40:41], v[42:43]
	v_div_fmas_f64 v[36:37], v[36:37], v[38:39], v[40:41]
	v_cmp_lt_i32_e32 vcc_lo, s58, v17
	s_or_b32 s9, vcc_lo, s9
	s_delay_alu instid0(VALU_DEP_2) | instskip(NEXT) | instid1(VALU_DEP_1)
	v_div_fixup_f64 v[18:19], v[36:37], s[50:51], v[18:19]
	v_cvt_f32_f64_e32 v18, v[18:19]
	global_store_b32 v[13:14], v18, off
	v_add_co_u32 v13, s7, 0x400, v13
	s_delay_alu instid0(VALU_DEP_1)
	v_add_co_ci_u32_e64 v14, s7, 0, v14, s7
	s_and_not1_b32 exec_lo, exec_lo, s9
	s_cbranch_execnz .LBB1_34
.LBB1_35:                               ;   in Loop: Header=BB1_23 Depth=2
	s_or_b32 exec_lo, exec_lo, s8
	s_and_saveexec_b32 s8, s6
	s_cbranch_execz .LBB1_38
; %bb.36:                               ;   in Loop: Header=BB1_23 Depth=2
	v_dual_mov_b32 v14, v10 :: v_dual_mov_b32 v13, v9
	v_dual_mov_b32 v16, v8 :: v_dual_mov_b32 v15, v7
	;; [unrolled: 1-line block ×4, first 2 shown]
	v_mov_b32_e32 v36, v0
	s_mov_b32 s9, 0
	s_set_inst_prefetch_distance 0x1
	.p2align	6
.LBB1_37:                               ;   Parent Loop BB1_12 Depth=1
                                        ;     Parent Loop BB1_23 Depth=2
                                        ; =>    This Inner Loop Header: Depth=3
	global_load_b32 v37, v[15:16], off
	v_add_co_u32 v15, vcc_lo, 0x400, v15
	v_add_co_ci_u32_e32 v16, vcc_lo, 0, v16, vcc_lo
	s_waitcnt vmcnt(0)
	global_store_b32 v[19:20], v37, off
	global_load_b32 v39, v[13:14], off
	v_add_nc_u32_e32 v37, s103, v36
	v_add_nc_u32_e32 v36, 0x100, v36
	s_delay_alu instid0(VALU_DEP_2) | instskip(NEXT) | instid1(VALU_DEP_2)
	v_ashrrev_i32_e32 v38, 31, v37
	v_cmp_le_i32_e32 vcc_lo, s58, v36
	s_delay_alu instid0(VALU_DEP_2) | instskip(SKIP_1) | instid1(VALU_DEP_1)
	v_lshlrev_b64 v[37:38], 2, v[37:38]
	s_or_b32 s9, vcc_lo, s9
	v_add_co_u32 v37, s7, s14, v37
	s_delay_alu instid0(VALU_DEP_1) | instskip(SKIP_1) | instid1(VALU_DEP_1)
	v_add_co_ci_u32_e64 v38, s7, s15, v38, s7
	v_add_co_u32 v19, s7, 0x400, v19
	v_add_co_ci_u32_e64 v20, s7, 0, v20, s7
	v_add_co_u32 v13, s7, 0x400, v13
	s_delay_alu instid0(VALU_DEP_1) | instskip(SKIP_4) | instid1(VALU_DEP_1)
	v_add_co_ci_u32_e64 v14, s7, 0, v14, s7
	s_waitcnt vmcnt(0)
	global_store_b32 v[37:38], v39, off
	global_store_b32 v[17:18], v39, off
	v_add_co_u32 v17, s7, 0x400, v17
	v_add_co_ci_u32_e64 v18, s7, 0, v18, s7
	s_and_not1_b32 exec_lo, exec_lo, s9
	s_cbranch_execnz .LBB1_37
.LBB1_38:                               ;   in Loop: Header=BB1_23 Depth=2
	s_set_inst_prefetch_distance 0x2
	s_or_b32 exec_lo, exec_lo, s8
	s_and_saveexec_b32 s7, s2
	s_cbranch_execz .LBB1_40
; %bb.39:                               ;   in Loop: Header=BB1_23 Depth=2
	global_load_b32 v13, v21, s[60:61]
	s_waitcnt vmcnt(0)
	global_store_b32 v21, v13, s[62:63]
.LBB1_40:                               ;   in Loop: Header=BB1_23 Depth=2
	s_or_b32 exec_lo, exec_lo, s7
	s_waitcnt vmcnt(0)
	v_dual_mul_f32 v13, s36, v29 :: v_dual_sub_f32 v14, v29, v35
	s_cmp_eq_u32 s55, 0
	s_waitcnt_vscnt null, 0x0
	s_barrier
	s_delay_alu instid0(VALU_DEP_1)
	v_mul_f32_e64 v15, 0x41200000, |v13|
	v_fma_f32 v13, 0x41200000, |v13|, v35
	buffer_gl0_inv
	v_cmp_lt_f32_e32 vcc_lo, v14, v15
	v_cndmask_b32_e32 v13, v29, v13, vcc_lo
	s_cselect_b32 vcc_lo, -1, 0
	s_cmp_lg_u32 s55, 0
	s_cselect_b32 s69, -1, 0
	s_delay_alu instid0(VALU_DEP_1)
	v_cndmask_b32_e32 v29, v13, v29, vcc_lo
	s_and_saveexec_b32 s7, s2
	s_cbranch_execz .LBB1_67
; %bb.41:                               ;   in Loop: Header=BB1_23 Depth=2
	global_load_b32 v13, v21, s[20:21]
	s_mov_b64 s[8:9], 0
	s_mov_b32 s22, 1
	global_store_b32 v21, v21, s[64:65]
	s_waitcnt vmcnt(0)
	v_sub_f32_e32 v13, v13, v29
	global_store_b32 v21, v13, s[20:21]
	global_load_b32 v14, v21, s[30:31] offset:4
	s_waitcnt vmcnt(0)
	v_add_f32_e64 v13, |v13|, |v14|
	s_branch .LBB1_43
.LBB1_42:                               ;   in Loop: Header=BB1_43 Depth=3
	s_add_u32 s8, s8, 4
	s_addc_u32 s9, s9, 0
	s_add_i32 s22, s22, 1
	s_delay_alu instid0(SALU_CYCLE_1)
	s_cmp_eq_u32 s26, s22
	s_cbranch_scc1 .LBB1_64
.LBB1_43:                               ;   Parent Loop BB1_12 Depth=1
                                        ;     Parent Loop BB1_23 Depth=2
                                        ; =>    This Inner Loop Header: Depth=3
	s_add_i32 s35, s22, -1
	s_add_u32 s72, s20, s8
	s_addc_u32 s73, s21, s9
	s_add_u32 s70, s38, s8
	global_load_b32 v14, v21, s[72:73] offset:4
	s_addc_u32 s71, s39, s9
	s_cmp_lt_i32 s35, s59
	s_cselect_b32 s34, -1, 0
	s_cmp_ge_i32 s35, s59
	s_waitcnt vmcnt(0)
	v_sub_f32_e32 v16, v14, v29
	global_store_b32 v21, v16, s[72:73] offset:4
	global_load_b32 v17, v21, s[70:71]
	s_waitcnt vmcnt(0)
	v_add_f32_e64 v14, |v16|, |v17|
	s_cbranch_scc1 .LBB1_45
; %bb.44:                               ;   in Loop: Header=BB1_43 Depth=3
	s_add_u32 s74, s30, s8
	s_addc_u32 s75, s31, s9
	global_load_b32 v15, v21, s[74:75] offset:8
	s_waitcnt vmcnt(0)
	v_add_f32_e64 v14, v14, |v15|
.LBB1_45:                               ;   in Loop: Header=BB1_43 Depth=3
	global_load_b32 v19, v21, s[72:73]
	v_mov_b32_e32 v15, 0
	s_waitcnt vmcnt(0)
	v_cmp_eq_f32_e32 vcc_lo, 0, v19
	s_cbranch_vccnz .LBB1_47
; %bb.46:                               ;   in Loop: Header=BB1_43 Depth=3
	v_and_b32_e32 v15, 0x7fffffff, v19
	s_delay_alu instid0(VALU_DEP_1) | instskip(NEXT) | instid1(VALU_DEP_1)
	v_div_scale_f32 v18, null, v13, v13, v15
	v_rcp_f32_e32 v20, v18
	s_waitcnt_depctr 0xfff
	v_fma_f32 v36, -v18, v20, 1.0
	s_delay_alu instid0(VALU_DEP_1) | instskip(SKIP_1) | instid1(VALU_DEP_1)
	v_fmac_f32_e32 v20, v36, v20
	v_div_scale_f32 v15, vcc_lo, v15, v13, v15
	v_mul_f32_e32 v36, v15, v20
	s_delay_alu instid0(VALU_DEP_1) | instskip(NEXT) | instid1(VALU_DEP_1)
	v_fma_f32 v37, -v18, v36, v15
	v_fmac_f32_e32 v36, v37, v20
	s_delay_alu instid0(VALU_DEP_1) | instskip(NEXT) | instid1(VALU_DEP_1)
	v_fma_f32 v15, -v18, v36, v15
	v_div_fmas_f32 v15, v15, v20, v36
	s_delay_alu instid0(VALU_DEP_1)
	v_div_fixup_f32 v15, v15, v13, |v19|
.LBB1_47:                               ;   in Loop: Header=BB1_43 Depth=3
	v_cmp_neq_f32_e32 vcc_lo, 0, v17
	s_cbranch_vccz .LBB1_52
; %bb.48:                               ;   in Loop: Header=BB1_43 Depth=3
	v_and_b32_e32 v18, 0x7fffffff, v17
	s_add_u32 s74, s86, s8
	s_addc_u32 s75, s87, s9
	s_delay_alu instid0(VALU_DEP_1) | instskip(SKIP_1) | instid1(VALU_DEP_2)
	v_div_scale_f32 v20, null, v14, v14, v18
	v_div_scale_f32 v18, vcc_lo, v18, v14, v18
	v_rcp_f32_e32 v36, v20
	s_waitcnt_depctr 0xfff
	v_fma_f32 v37, -v20, v36, 1.0
	s_delay_alu instid0(VALU_DEP_1) | instskip(NEXT) | instid1(VALU_DEP_1)
	v_fmac_f32_e32 v36, v37, v36
	v_mul_f32_e32 v37, v18, v36
	s_delay_alu instid0(VALU_DEP_1) | instskip(NEXT) | instid1(VALU_DEP_1)
	v_fma_f32 v38, -v20, v37, v18
	v_fmac_f32_e32 v37, v38, v36
	s_delay_alu instid0(VALU_DEP_1) | instskip(NEXT) | instid1(VALU_DEP_1)
	v_fma_f32 v18, -v20, v37, v18
	v_div_fmas_f32 v18, v18, v36, v37
	s_delay_alu instid0(VALU_DEP_1) | instskip(NEXT) | instid1(VALU_DEP_1)
	v_div_fixup_f32 v18, v18, v14, |v17|
	v_cmp_nle_f32_e32 vcc_lo, v18, v15
	s_cbranch_vccnz .LBB1_53
; %bb.49:                               ;   in Loop: Header=BB1_43 Depth=3
	v_div_scale_f32 v20, null, v19, v19, v17
	v_div_scale_f32 v38, vcc_lo, v17, v19, v17
	s_add_u32 s76, s30, s8
	s_delay_alu instid0(VALU_DEP_2) | instskip(SKIP_3) | instid1(VALU_DEP_1)
	v_rcp_f32_e32 v36, v20
	s_addc_u32 s77, s31, s9
	s_waitcnt_depctr 0xfff
	v_fma_f32 v37, -v20, v36, 1.0
	v_fmac_f32_e32 v36, v37, v36
	s_delay_alu instid0(VALU_DEP_1) | instskip(NEXT) | instid1(VALU_DEP_1)
	v_mul_f32_e32 v37, v38, v36
	v_fma_f32 v39, -v20, v37, v38
	s_delay_alu instid0(VALU_DEP_1) | instskip(NEXT) | instid1(VALU_DEP_1)
	v_fmac_f32_e32 v37, v39, v36
	v_fma_f32 v20, -v20, v37, v38
	s_delay_alu instid0(VALU_DEP_1) | instskip(SKIP_1) | instid1(VALU_DEP_1)
	v_div_fmas_f32 v20, v20, v36, v37
	s_and_not1_b32 vcc_lo, exec_lo, s34
	v_div_fixup_f32 v20, v20, v19, v17
	global_store_b32 v21, v20, s[70:71]
	s_clause 0x1
	global_load_b32 v36, v21, s[72:73] offset:4
	global_load_b32 v37, v21, s[76:77] offset:4
	s_waitcnt vmcnt(0)
	v_fma_f32 v20, -v20, v37, v36
	s_clause 0x1
	global_store_b32 v21, v21, s[74:75]
	global_store_b32 v21, v20, s[72:73] offset:4
	s_cbranch_vccnz .LBB1_51
; %bb.50:                               ;   in Loop: Header=BB1_43 Depth=3
	s_add_u32 s76, s40, s8
	s_addc_u32 s77, s41, s9
	global_store_b32 v21, v21, s[76:77]
.LBB1_51:                               ;   in Loop: Header=BB1_43 Depth=3
	v_mov_b32_e32 v20, v14
	s_cbranch_execz .LBB1_54
	s_branch .LBB1_57
.LBB1_52:                               ;   in Loop: Header=BB1_43 Depth=3
                                        ; implicit-def: $vgpr18
                                        ; implicit-def: $vgpr13
	s_branch .LBB1_58
.LBB1_53:                               ;   in Loop: Header=BB1_43 Depth=3
	v_mov_b32_e32 v20, v14
.LBB1_54:                               ;   in Loop: Header=BB1_43 Depth=3
	s_add_u32 s76, s30, s8
	s_addc_u32 s77, s31, s9
	global_store_b32 v21, v17, s[72:73]
	global_load_b32 v20, v21, s[76:77] offset:4
	v_div_scale_f32 v36, null, v17, v17, v19
	s_delay_alu instid0(VALU_DEP_1) | instskip(SKIP_2) | instid1(VALU_DEP_1)
	v_rcp_f32_e32 v37, v36
	s_waitcnt_depctr 0xfff
	v_fma_f32 v38, -v36, v37, 1.0
	v_fmac_f32_e32 v37, v38, v37
	v_div_scale_f32 v38, vcc_lo, v19, v17, v19
	s_delay_alu instid0(VALU_DEP_1) | instskip(NEXT) | instid1(VALU_DEP_1)
	v_mul_f32_e32 v39, v38, v37
	v_fma_f32 v40, -v36, v39, v38
	s_delay_alu instid0(VALU_DEP_1) | instskip(NEXT) | instid1(VALU_DEP_1)
	v_fmac_f32_e32 v39, v40, v37
	v_fma_f32 v36, -v36, v39, v38
	s_delay_alu instid0(VALU_DEP_1) | instskip(SKIP_1) | instid1(VALU_DEP_1)
	v_div_fmas_f32 v36, v36, v37, v39
	s_and_not1_b32 vcc_lo, exec_lo, s34
	v_div_fixup_f32 v17, v36, v17, v19
	s_waitcnt vmcnt(0)
	s_delay_alu instid0(VALU_DEP_1)
	v_fma_f32 v19, -v16, v17, v20
	s_clause 0x1
	global_store_b32 v21, v27, s[74:75]
	global_store_b32 v21, v19, s[72:73] offset:4
	s_cbranch_vccnz .LBB1_56
; %bb.55:                               ;   in Loop: Header=BB1_43 Depth=3
	global_load_b32 v19, v21, s[76:77] offset:8
	s_add_u32 s72, s40, s8
	s_addc_u32 s73, s41, s9
	s_waitcnt vmcnt(0)
	v_mul_f32_e64 v20, v19, -v17
	s_clause 0x1
	global_store_b32 v21, v19, s[72:73]
	global_store_b32 v21, v20, s[76:77] offset:8
.LBB1_56:                               ;   in Loop: Header=BB1_43 Depth=3
	v_mov_b32_e32 v20, v13
	s_clause 0x1
	global_store_b32 v21, v16, s[76:77] offset:4
	global_store_b32 v21, v17, s[70:71]
.LBB1_57:                               ;   in Loop: Header=BB1_43 Depth=3
	s_delay_alu instid0(VALU_DEP_1)
	v_mov_b32_e32 v13, v20
	s_cbranch_execnz .LBB1_61
.LBB1_58:                               ;   in Loop: Header=BB1_43 Depth=3
	s_add_u32 s70, s86, s8
	s_addc_u32 s71, s87, s9
	s_and_not1_b32 vcc_lo, exec_lo, s34
	global_store_b32 v21, v21, s[70:71]
	s_cbranch_vccnz .LBB1_60
; %bb.59:                               ;   in Loop: Header=BB1_43 Depth=3
	s_add_u32 s34, s40, s8
	s_addc_u32 s35, s41, s9
	global_store_b32 v21, v21, s[34:35]
.LBB1_60:                               ;   in Loop: Header=BB1_43 Depth=3
	v_dual_mov_b32 v18, 0 :: v_dual_mov_b32 v13, v14
.LBB1_61:                               ;   in Loop: Header=BB1_43 Depth=3
	s_delay_alu instid0(VALU_DEP_1) | instskip(NEXT) | instid1(VALU_DEP_1)
	v_dual_max_f32 v14, v18, v18 :: v_dual_max_f32 v15, v15, v15
	v_max_f32_e32 v14, v15, v14
	s_delay_alu instid0(VALU_DEP_1)
	v_cmp_nle_f32_e32 vcc_lo, v14, v22
	s_cbranch_vccnz .LBB1_42
; %bb.62:                               ;   in Loop: Header=BB1_43 Depth=3
	global_load_b32 v14, v21, s[64:65]
	s_waitcnt vmcnt(0)
	v_cmp_ne_u32_e32 vcc_lo, 0, v14
	s_cbranch_vccnz .LBB1_42
; %bb.63:                               ;   in Loop: Header=BB1_43 Depth=3
	v_mov_b32_e32 v14, s22
	global_store_b32 v21, v14, s[64:65]
	s_branch .LBB1_42
.LBB1_64:                               ;   in Loop: Header=BB1_23 Depth=2
	global_load_b32 v14, v21, s[66:67]
	v_mul_f32_e32 v13, v22, v13
	s_waitcnt vmcnt(0)
	s_delay_alu instid0(VALU_DEP_1) | instskip(NEXT) | instid1(VALU_DEP_1)
	v_cmp_le_f32_e64 s8, |v14|, v13
	s_and_b32 vcc_lo, exec_lo, s8
	s_cbranch_vccz .LBB1_67
; %bb.65:                               ;   in Loop: Header=BB1_23 Depth=2
	global_load_b32 v13, v21, s[64:65]
	s_waitcnt vmcnt(0)
	v_cmp_ne_u32_e32 vcc_lo, 0, v13
	s_cbranch_vccnz .LBB1_67
; %bb.66:                               ;   in Loop: Header=BB1_23 Depth=2
	global_store_b32 v21, v31, s[64:65]
.LBB1_67:                               ;   in Loop: Header=BB1_23 Depth=2
	s_or_b32 exec_lo, exec_lo, s7
	s_delay_alu instid0(VALU_DEP_1) | instskip(SKIP_2) | instid1(VALU_DEP_1)
	v_sub_f32_e32 v13, v29, v35
	s_mov_b32 s77, 0
	s_mov_b32 s34, 0
	v_cmp_gt_f32_e64 s76, |v13|, v33
	v_bfrev_b32_e32 v16, -2
	v_mov_b32_e32 v15, 0
	s_and_saveexec_b32 s8, s5
	s_cbranch_execz .LBB1_71
.LBB1_68:                               ;   in Loop: Header=BB1_23 Depth=2
	v_dual_mov_b32 v15, 0 :: v_dual_mov_b32 v14, v2
	v_bfrev_b32_e32 v16, -2
	v_mov_b32_e32 v13, v1
	v_mov_b32_e32 v17, v0
	s_mov_b32 s9, 0
	.p2align	6
.LBB1_69:                               ;   Parent Loop BB1_12 Depth=1
                                        ;     Parent Loop BB1_23 Depth=2
                                        ; =>    This Inner Loop Header: Depth=3
	global_load_b32 v18, v[13:14], off
	v_cmp_eq_u32_e32 vcc_lo, 0x7fffffff, v16
	v_add_nc_u32_e32 v19, 1, v17
	v_add_co_u32 v13, s7, 0x400, v13
	s_delay_alu instid0(VALU_DEP_1) | instskip(SKIP_2) | instid1(VALU_DEP_1)
	v_add_co_ci_u32_e64 v14, s7, 0, v14, s7
	s_waitcnt vmcnt(0)
	v_cmp_lt_f32_e64 s22, v15, |v18|
	s_or_b32 vcc_lo, s22, vcc_lo
	v_dual_cndmask_b32 v16, v16, v19 :: v_dual_add_nc_u32 v17, 0x100, v17
	v_cndmask_b32_e64 v15, v15, |v18|, vcc_lo
	s_delay_alu instid0(VALU_DEP_2) | instskip(NEXT) | instid1(VALU_DEP_1)
	v_cmp_lt_i32_e64 s7, s58, v17
	s_or_b32 s9, s7, s9
	s_delay_alu instid0(SALU_CYCLE_1)
	s_and_not1_b32 exec_lo, exec_lo, s9
	s_cbranch_execnz .LBB1_69
; %bb.70:                               ;   in Loop: Header=BB1_23 Depth=2
	s_or_b32 exec_lo, exec_lo, s9
.LBB1_71:                               ;   Parent Loop BB1_12 Depth=1
                                        ;     Parent Loop BB1_23 Depth=2
                                        ; =>    This Loop Header: Depth=3
                                        ;         Child Loop BB1_108 Depth 4
                                        ;         Child Loop BB1_111 Depth 4
	;; [unrolled: 1-line block ×4, first 2 shown]
                                        ;           Child Loop BB1_128 Depth 5
                                        ;         Child Loop BB1_140 Depth 4
                                        ;           Child Loop BB1_141 Depth 5
                                        ;           Child Loop BB1_143 Depth 5
                                        ;         Child Loop BB1_148 Depth 4
	s_delay_alu instid0(SALU_CYCLE_1)
	s_or_b32 exec_lo, exec_lo, s8
	ds_store_2addr_stride64_b32 v23, v15, v16 offset1:8
	s_waitcnt lgkmcnt(0)
	s_waitcnt_vscnt null, 0x0
	s_barrier
	buffer_gl0_inv
	s_and_saveexec_b32 s8, s0
	s_cbranch_execz .LBB1_77
; %bb.72:                               ;   in Loop: Header=BB1_71 Depth=3
	ds_load_b32 v13, v23 offset:512
	ds_load_b32 v14, v24 offset:512
	s_mov_b32 s22, exec_lo
	s_waitcnt lgkmcnt(1)
	v_cmp_lt_f32_e64 s9, v15, v13
	v_cmpx_nlt_f32_e32 v15, v13
	s_cbranch_execz .LBB1_74
; %bb.73:                               ;   in Loop: Header=BB1_71 Depth=3
	v_cmp_eq_f32_e32 vcc_lo, v15, v13
	s_waitcnt lgkmcnt(0)
	v_cmp_gt_i32_e64 s7, v16, v14
	s_and_not1_b32 s9, s9, exec_lo
	s_delay_alu instid0(VALU_DEP_1) | instskip(NEXT) | instid1(SALU_CYCLE_1)
	s_and_b32 s7, vcc_lo, s7
	s_and_b32 s7, s7, exec_lo
	s_delay_alu instid0(SALU_CYCLE_1)
	s_or_b32 s9, s9, s7
.LBB1_74:                               ;   in Loop: Header=BB1_71 Depth=3
	s_or_b32 exec_lo, exec_lo, s22
	s_delay_alu instid0(VALU_DEP_2)
	s_and_saveexec_b32 s7, s9
	s_cbranch_execz .LBB1_76
; %bb.75:                               ;   in Loop: Header=BB1_71 Depth=3
	s_waitcnt lgkmcnt(0)
	v_dual_mov_b32 v16, v14 :: v_dual_mov_b32 v15, v13
	ds_store_2addr_stride64_b32 v23, v13, v14 offset1:8
.LBB1_76:                               ;   in Loop: Header=BB1_71 Depth=3
	s_or_b32 exec_lo, exec_lo, s7
.LBB1_77:                               ;   in Loop: Header=BB1_71 Depth=3
	s_delay_alu instid0(SALU_CYCLE_1)
	s_or_b32 exec_lo, exec_lo, s8
	s_waitcnt lgkmcnt(0)
	s_barrier
	buffer_gl0_inv
	s_and_saveexec_b32 s8, s1
	s_cbranch_execz .LBB1_83
; %bb.78:                               ;   in Loop: Header=BB1_71 Depth=3
	ds_load_b32 v13, v23 offset:256
	ds_load_b32 v14, v24 offset:256
	s_mov_b32 s22, exec_lo
	s_waitcnt lgkmcnt(1)
	v_cmp_lt_f32_e64 s9, v15, v13
	v_cmpx_nlt_f32_e32 v15, v13
	s_cbranch_execz .LBB1_80
; %bb.79:                               ;   in Loop: Header=BB1_71 Depth=3
	v_cmp_eq_f32_e32 vcc_lo, v15, v13
	s_waitcnt lgkmcnt(0)
	v_cmp_gt_i32_e64 s7, v16, v14
	s_and_not1_b32 s9, s9, exec_lo
	s_delay_alu instid0(VALU_DEP_1) | instskip(NEXT) | instid1(SALU_CYCLE_1)
	s_and_b32 s7, vcc_lo, s7
	s_and_b32 s7, s7, exec_lo
	s_delay_alu instid0(SALU_CYCLE_1)
	s_or_b32 s9, s9, s7
.LBB1_80:                               ;   in Loop: Header=BB1_71 Depth=3
	s_or_b32 exec_lo, exec_lo, s22
	s_delay_alu instid0(VALU_DEP_2)
	s_and_saveexec_b32 s7, s9
	s_cbranch_execz .LBB1_82
; %bb.81:                               ;   in Loop: Header=BB1_71 Depth=3
	s_waitcnt lgkmcnt(0)
	v_dual_mov_b32 v16, v14 :: v_dual_mov_b32 v15, v13
	ds_store_2addr_stride64_b32 v23, v13, v14 offset1:8
.LBB1_82:                               ;   in Loop: Header=BB1_71 Depth=3
	s_or_b32 exec_lo, exec_lo, s7
.LBB1_83:                               ;   in Loop: Header=BB1_71 Depth=3
	s_delay_alu instid0(SALU_CYCLE_1)
	s_or_b32 exec_lo, exec_lo, s8
	s_waitcnt lgkmcnt(0)
	s_barrier
	buffer_gl0_inv
	s_and_saveexec_b32 s9, s3
	s_cbranch_execz .LBB1_106
; %bb.84:                               ;   in Loop: Header=BB1_71 Depth=3
	ds_load_b32 v13, v23 offset:128
	ds_load_b32 v14, v24 offset:128
	s_mov_b32 s22, exec_lo
	s_waitcnt lgkmcnt(1)
	v_cmp_lt_f32_e64 s8, v15, v13
	v_cmpx_nlt_f32_e32 v15, v13
	s_cbranch_execz .LBB1_86
; %bb.85:                               ;   in Loop: Header=BB1_71 Depth=3
	v_cmp_eq_f32_e32 vcc_lo, v15, v13
	s_waitcnt lgkmcnt(0)
	v_cmp_gt_i32_e64 s7, v16, v14
	s_and_not1_b32 s8, s8, exec_lo
	s_delay_alu instid0(VALU_DEP_1) | instskip(NEXT) | instid1(SALU_CYCLE_1)
	s_and_b32 s7, vcc_lo, s7
	s_and_b32 s7, s7, exec_lo
	s_delay_alu instid0(SALU_CYCLE_1)
	s_or_b32 s8, s8, s7
.LBB1_86:                               ;   in Loop: Header=BB1_71 Depth=3
	s_or_b32 exec_lo, exec_lo, s22
	s_delay_alu instid0(VALU_DEP_2)
	s_and_saveexec_b32 s7, s8
	s_cbranch_execz .LBB1_88
; %bb.87:                               ;   in Loop: Header=BB1_71 Depth=3
	s_waitcnt lgkmcnt(0)
	v_dual_mov_b32 v15, v13 :: v_dual_mov_b32 v16, v14
	ds_store_2addr_stride64_b32 v23, v13, v14 offset1:8
.LBB1_88:                               ;   in Loop: Header=BB1_71 Depth=3
	s_or_b32 exec_lo, exec_lo, s7
	ds_load_b32 v13, v23 offset:64
	s_waitcnt lgkmcnt(1)
	ds_load_b32 v14, v24 offset:64
	s_mov_b32 s22, exec_lo
	s_waitcnt lgkmcnt(1)
	v_cmp_lt_f32_e64 s8, v15, v13
	v_cmpx_nlt_f32_e32 v15, v13
	s_cbranch_execz .LBB1_90
; %bb.89:                               ;   in Loop: Header=BB1_71 Depth=3
	v_cmp_eq_f32_e32 vcc_lo, v15, v13
	s_waitcnt lgkmcnt(0)
	v_cmp_gt_i32_e64 s7, v16, v14
	s_and_not1_b32 s8, s8, exec_lo
	s_delay_alu instid0(VALU_DEP_1) | instskip(NEXT) | instid1(SALU_CYCLE_1)
	s_and_b32 s7, vcc_lo, s7
	s_and_b32 s7, s7, exec_lo
	s_delay_alu instid0(SALU_CYCLE_1)
	s_or_b32 s8, s8, s7
.LBB1_90:                               ;   in Loop: Header=BB1_71 Depth=3
	s_or_b32 exec_lo, exec_lo, s22
	s_delay_alu instid0(VALU_DEP_2)
	s_and_saveexec_b32 s7, s8
	s_cbranch_execz .LBB1_92
; %bb.91:                               ;   in Loop: Header=BB1_71 Depth=3
	s_waitcnt lgkmcnt(0)
	v_dual_mov_b32 v15, v13 :: v_dual_mov_b32 v16, v14
	ds_store_2addr_stride64_b32 v23, v13, v14 offset1:8
.LBB1_92:                               ;   in Loop: Header=BB1_71 Depth=3
	s_or_b32 exec_lo, exec_lo, s7
	ds_load_b32 v13, v23 offset:32
	s_waitcnt lgkmcnt(1)
	;; [unrolled: 29-line block ×3, first 2 shown]
	ds_load_b32 v14, v24 offset:16
	s_mov_b32 s22, exec_lo
	s_waitcnt lgkmcnt(1)
	v_cmp_lt_f32_e64 s8, v15, v13
	v_cmpx_nlt_f32_e32 v15, v13
	s_cbranch_execz .LBB1_98
; %bb.97:                               ;   in Loop: Header=BB1_71 Depth=3
	v_cmp_eq_f32_e32 vcc_lo, v15, v13
	s_waitcnt lgkmcnt(0)
	v_cmp_gt_i32_e64 s7, v16, v14
	s_and_not1_b32 s8, s8, exec_lo
	s_delay_alu instid0(VALU_DEP_1) | instskip(NEXT) | instid1(SALU_CYCLE_1)
	s_and_b32 s7, vcc_lo, s7
	s_and_b32 s7, s7, exec_lo
	s_delay_alu instid0(SALU_CYCLE_1)
	s_or_b32 s8, s8, s7
.LBB1_98:                               ;   in Loop: Header=BB1_71 Depth=3
	s_or_b32 exec_lo, exec_lo, s22
	s_delay_alu instid0(VALU_DEP_2)
	s_and_saveexec_b32 s7, s8
	s_cbranch_execz .LBB1_100
; %bb.99:                               ;   in Loop: Header=BB1_71 Depth=3
	s_waitcnt lgkmcnt(0)
	v_dual_mov_b32 v15, v13 :: v_dual_mov_b32 v16, v14
	ds_store_2addr_stride64_b32 v23, v13, v14 offset1:8
.LBB1_100:                              ;   in Loop: Header=BB1_71 Depth=3
	s_or_b32 exec_lo, exec_lo, s7
	ds_load_b32 v13, v23 offset:8
	s_waitcnt lgkmcnt(1)
	ds_load_b32 v14, v24 offset:8
	s_mov_b32 s22, exec_lo
	s_waitcnt lgkmcnt(1)
	v_cmp_lt_f32_e64 s8, v15, v13
	v_cmpx_nlt_f32_e32 v15, v13
	s_cbranch_execz .LBB1_102
; %bb.101:                              ;   in Loop: Header=BB1_71 Depth=3
	v_cmp_eq_f32_e32 vcc_lo, v15, v13
	s_waitcnt lgkmcnt(0)
	v_cmp_gt_i32_e64 s7, v16, v14
	s_and_not1_b32 s8, s8, exec_lo
	s_delay_alu instid0(VALU_DEP_1) | instskip(NEXT) | instid1(SALU_CYCLE_1)
	s_and_b32 s7, vcc_lo, s7
	s_and_b32 s7, s7, exec_lo
	s_delay_alu instid0(SALU_CYCLE_1)
	s_or_b32 s8, s8, s7
.LBB1_102:                              ;   in Loop: Header=BB1_71 Depth=3
	s_or_b32 exec_lo, exec_lo, s22
	s_delay_alu instid0(VALU_DEP_2)
	s_and_saveexec_b32 s7, s8
	s_cbranch_execz .LBB1_104
; %bb.103:                              ;   in Loop: Header=BB1_71 Depth=3
	s_waitcnt lgkmcnt(0)
	v_dual_mov_b32 v15, v13 :: v_dual_mov_b32 v16, v14
	ds_store_2addr_stride64_b32 v23, v13, v14 offset1:8
.LBB1_104:                              ;   in Loop: Header=BB1_71 Depth=3
	s_or_b32 exec_lo, exec_lo, s7
	ds_load_b32 v13, v23 offset:4
	s_waitcnt lgkmcnt(1)
	ds_load_b32 v14, v24 offset:4
	s_waitcnt lgkmcnt(1)
	v_cmp_eq_f32_e32 vcc_lo, v15, v13
	s_waitcnt lgkmcnt(0)
	v_cmp_gt_i32_e64 s7, v16, v14
	v_cmp_lt_f32_e64 s8, v15, v13
	s_delay_alu instid0(VALU_DEP_2)
	s_and_b32 s7, vcc_lo, s7
	s_delay_alu instid0(VALU_DEP_1) | instid1(SALU_CYCLE_1)
	s_or_b32 s7, s8, s7
	s_delay_alu instid0(SALU_CYCLE_1)
	s_and_b32 exec_lo, exec_lo, s7
	s_cbranch_execz .LBB1_106
; %bb.105:                              ;   in Loop: Header=BB1_71 Depth=3
	ds_store_2addr_stride64_b32 v23, v13, v14 offset1:8
.LBB1_106:                              ;   in Loop: Header=BB1_71 Depth=3
	s_or_b32 exec_lo, exec_lo, s9
	s_waitcnt lgkmcnt(0)
	s_barrier
	buffer_gl0_inv
	s_and_saveexec_b32 s8, s5
	s_cbranch_execz .LBB1_109
; %bb.107:                              ;   in Loop: Header=BB1_71 Depth=3
	global_load_b32 v13, v21, s[62:63]
	ds_load_b32 v15, v28
	s_mov_b32 s9, 0
	s_waitcnt vmcnt(0)
	v_cmp_gt_f32_e64 s7, |v13|, s36
	s_delay_alu instid0(VALU_DEP_1) | instskip(NEXT) | instid1(VALU_DEP_1)
	v_cndmask_b32_e64 v13, s36, |v13|, s7
	v_mul_f32_e32 v16, v34, v13
	s_waitcnt lgkmcnt(0)
	s_delay_alu instid0(VALU_DEP_1) | instskip(SKIP_1) | instid1(VALU_DEP_2)
	v_div_scale_f32 v13, null, v15, v15, v16
	v_div_scale_f32 v18, vcc_lo, v16, v15, v16
	v_rcp_f32_e32 v14, v13
	s_waitcnt_depctr 0xfff
	v_fma_f32 v17, -v13, v14, 1.0
	s_delay_alu instid0(VALU_DEP_1) | instskip(NEXT) | instid1(VALU_DEP_1)
	v_fmac_f32_e32 v14, v17, v14
	v_mul_f32_e32 v17, v18, v14
	s_delay_alu instid0(VALU_DEP_1) | instskip(NEXT) | instid1(VALU_DEP_1)
	v_fma_f32 v19, -v13, v17, v18
	v_fmac_f32_e32 v17, v19, v14
	s_delay_alu instid0(VALU_DEP_1) | instskip(NEXT) | instid1(VALU_DEP_1)
	v_fma_f32 v13, -v13, v17, v18
	v_div_fmas_f32 v17, v13, v14, v17
	v_dual_mov_b32 v14, v2 :: v_dual_mov_b32 v13, v1
	s_delay_alu instid0(VALU_DEP_2)
	v_div_fixup_f32 v15, v17, v15, v16
	v_mov_b32_e32 v16, v0
.LBB1_108:                              ;   Parent Loop BB1_12 Depth=1
                                        ;     Parent Loop BB1_23 Depth=2
                                        ;       Parent Loop BB1_71 Depth=3
                                        ; =>      This Inner Loop Header: Depth=4
	global_load_b32 v17, v[13:14], off
	s_waitcnt vmcnt(0)
	v_dual_mul_f32 v17, v15, v17 :: v_dual_add_nc_u32 v16, 0x100, v16
	s_delay_alu instid0(VALU_DEP_1) | instskip(SKIP_2) | instid1(VALU_DEP_1)
	v_cmp_lt_i32_e32 vcc_lo, s58, v16
	global_store_b32 v[13:14], v17, off
	v_add_co_u32 v13, s7, 0x400, v13
	v_add_co_ci_u32_e64 v14, s7, 0, v14, s7
	s_or_b32 s9, vcc_lo, s9
	s_delay_alu instid0(SALU_CYCLE_1)
	s_and_not1_b32 exec_lo, exec_lo, s9
	s_cbranch_execnz .LBB1_108
.LBB1_109:                              ;   in Loop: Header=BB1_71 Depth=3
	s_or_b32 exec_lo, exec_lo, s8
	s_waitcnt_vscnt null, 0x0
	s_barrier
	buffer_gl0_inv
	s_and_saveexec_b32 s35, s2
	s_cbranch_execz .LBB1_136
; %bb.110:                              ;   in Loop: Header=BB1_71 Depth=3
	s_clause 0x1
	global_load_b64 v[13:14], v21, s[20:21]
	global_load_b32 v15, v21, s[42:43]
	s_and_not1_b32 vcc_lo, exec_lo, vcc_hi
	s_mov_b64 s[8:9], s[28:29]
	s_mov_b64 s[70:71], s[46:47]
	;; [unrolled: 1-line block ×3, first 2 shown]
	s_mov_b32 s7, s59
	s_waitcnt vmcnt(0)
	v_max3_f32 v15, |v13|, |v14|, |v15|
	s_cbranch_vccnz .LBB1_112
	.p2align	6
.LBB1_111:                              ;   Parent Loop BB1_12 Depth=1
                                        ;     Parent Loop BB1_23 Depth=2
                                        ;       Parent Loop BB1_71 Depth=3
                                        ; =>      This Inner Loop Header: Depth=4
	s_clause 0x2
	global_load_b32 v13, v21, s[72:73]
	global_load_b32 v14, v21, s[8:9]
	;; [unrolled: 1-line block ×3, first 2 shown]
	s_add_i32 s7, s7, -1
	s_add_u32 s72, s72, 4
	s_addc_u32 s73, s73, 0
	s_add_u32 s70, s70, 4
	s_addc_u32 s71, s71, 0
	;; [unrolled: 2-line block ×3, first 2 shown]
	s_cmp_lg_u32 s7, 0
	s_waitcnt vmcnt(2)
	v_max_f32_e64 v13, |v13|, |v13|
	s_waitcnt vmcnt(1)
	v_max_f32_e64 v14, |v14|, |v14|
	s_delay_alu instid0(VALU_DEP_1) | instskip(SKIP_1) | instid1(VALU_DEP_1)
	v_max_f32_e32 v13, v14, v13
	s_waitcnt vmcnt(0)
	v_max3_f32 v15, v15, |v16|, v13
	s_cbranch_scc1 .LBB1_111
.LBB1_112:                              ;   in Loop: Header=BB1_71 Depth=3
	s_mov_b32 s8, 1
	s_mov_b64 s[70:71], 0
	s_mov_b32 s7, s58
	s_branch .LBB1_114
.LBB1_113:                              ;   in Loop: Header=BB1_114 Depth=4
	s_add_u32 s74, s74, s70
	s_addc_u32 s75, s75, s71
	s_add_i32 s8, s8, 1
	global_load_b32 v16, v21, s[74:75]
	s_add_u32 s70, s70, 4
	s_addc_u32 s71, s71, 0
	s_add_i32 s7, s7, -1
	s_delay_alu instid0(SALU_CYCLE_1)
	s_cmp_lg_u32 s7, 0
	s_waitcnt vmcnt(0)
	v_fma_f32 v13, -v14, v16, v13
	global_store_b32 v21, v13, s[72:73]
	s_cbranch_scc0 .LBB1_118
.LBB1_114:                              ;   Parent Loop BB1_12 Depth=1
                                        ;     Parent Loop BB1_23 Depth=2
                                        ;       Parent Loop BB1_71 Depth=3
                                        ; =>      This Inner Loop Header: Depth=4
	s_add_u32 s72, s86, s70
	s_addc_u32 s73, s87, s71
	global_load_b32 v13, v21, s[72:73]
	s_waitcnt vmcnt(0)
	v_cmp_ne_u32_e32 vcc_lo, 0, v13
	s_cbranch_vccz .LBB1_116
; %bb.115:                              ;   in Loop: Header=BB1_114 Depth=4
	s_add_u32 s74, s101, s70
	s_addc_u32 s75, s102, s71
	s_mov_b32 s9, 0
	global_load_b64 v[13:14], v21, s[74:75] offset:-4
	s_lshl_b64 s[72:73], s[8:9], 2
	s_delay_alu instid0(SALU_CYCLE_1)
	s_add_u32 s72, s14, s72
	s_addc_u32 s73, s15, s73
	s_waitcnt vmcnt(0)
	global_store_b32 v21, v14, s[74:75] offset:-4
	s_mov_b64 s[74:75], s[38:39]
	s_cbranch_execnz .LBB1_113
	s_branch .LBB1_117
.LBB1_116:                              ;   in Loop: Header=BB1_114 Depth=4
                                        ; implicit-def: $sgpr72_sgpr73
                                        ; implicit-def: $vgpr13
	s_mov_b64 s[74:75], s[38:39]
.LBB1_117:                              ;   in Loop: Header=BB1_114 Depth=4
	s_add_u32 s72, s101, s70
	s_addc_u32 s73, s102, s71
	s_add_u32 s74, s38, s70
	s_addc_u32 s75, s39, s71
	s_clause 0x1
	global_load_b32 v13, v21, s[72:73]
	global_load_b32 v14, v21, s[74:75]
	s_mov_b64 s[74:75], s[14:15]
	s_branch .LBB1_113
.LBB1_118:                              ;   in Loop: Header=BB1_71 Depth=3
	v_mul_f32_e32 v13, s36, v15
	s_mov_b32 s22, s58
	s_delay_alu instid0(VALU_DEP_1) | instskip(SKIP_1) | instid1(VALU_DEP_1)
	v_cmp_eq_f32_e32 vcc_lo, 0, v13
	v_cndmask_b32_e64 v13, v13, s36, vcc_lo
	v_and_b32_e32 v14, 0x7fffffff, v13
	s_branch .LBB1_121
.LBB1_119:                              ;   in Loop: Header=BB1_121 Depth=4
	s_delay_alu instid0(VALU_DEP_1)
	v_mov_b32_e32 v16, v20
.LBB1_120:                              ;   in Loop: Header=BB1_121 Depth=4
	s_delay_alu instid0(VALU_DEP_1) | instskip(SKIP_3) | instid1(VALU_DEP_1)
	v_div_scale_f32 v17, null, v16, v16, v15
	s_add_i32 s7, s22, -1
	s_cmp_gt_i32 s22, 0
	s_mov_b32 s22, s7
	v_rcp_f32_e32 v18, v17
	s_waitcnt_depctr 0xfff
	v_fma_f32 v19, -v17, v18, 1.0
	s_delay_alu instid0(VALU_DEP_1) | instskip(SKIP_1) | instid1(VALU_DEP_1)
	v_fmac_f32_e32 v18, v19, v18
	v_div_scale_f32 v19, vcc_lo, v15, v16, v15
	v_mul_f32_e32 v20, v19, v18
	s_delay_alu instid0(VALU_DEP_1) | instskip(NEXT) | instid1(VALU_DEP_1)
	v_fma_f32 v35, -v17, v20, v19
	v_fmac_f32_e32 v20, v35, v18
	s_delay_alu instid0(VALU_DEP_1) | instskip(NEXT) | instid1(VALU_DEP_1)
	v_fma_f32 v17, -v17, v20, v19
	v_div_fmas_f32 v17, v17, v18, v20
	s_delay_alu instid0(VALU_DEP_1)
	v_div_fixup_f32 v15, v17, v16, v15
	global_store_b32 v21, v15, s[8:9]
	s_cbranch_scc0 .LBB1_136
.LBB1_121:                              ;   Parent Loop BB1_12 Depth=1
                                        ;     Parent Loop BB1_23 Depth=2
                                        ;       Parent Loop BB1_71 Depth=3
                                        ; =>      This Loop Header: Depth=4
                                        ;           Child Loop BB1_128 Depth 5
	s_lshl_b64 s[70:71], s[22:23], 2
	s_delay_alu instid0(SALU_CYCLE_1)
	s_add_u32 s8, s14, s70
	s_addc_u32 s9, s15, s71
	s_cmp_ge_i32 s22, s58
	global_load_b32 v15, v21, s[8:9]
	s_cbranch_scc1 .LBB1_123
; %bb.122:                              ;   in Loop: Header=BB1_121 Depth=4
	s_add_u32 s72, s42, s70
	s_addc_u32 s73, s43, s71
	s_clause 0x1
	global_load_b32 v16, v21, s[72:73]
	global_load_b32 v17, v21, s[8:9] offset:4
	s_waitcnt vmcnt(0)
	v_fma_f32 v15, -v16, v17, v15
.LBB1_123:                              ;   in Loop: Header=BB1_121 Depth=4
	s_cmp_ge_i32 s22, s59
	s_cbranch_scc1 .LBB1_125
; %bb.124:                              ;   in Loop: Header=BB1_121 Depth=4
	s_add_u32 s72, s40, s70
	s_addc_u32 s73, s41, s71
	s_clause 0x1
	global_load_b32 v16, v21, s[72:73]
	global_load_b32 v17, v21, s[8:9] offset:8
	s_waitcnt vmcnt(0)
	v_fma_f32 v15, -v16, v17, v15
.LBB1_125:                              ;   in Loop: Header=BB1_121 Depth=4
	s_add_u32 s70, s20, s70
	s_addc_u32 s71, s21, s71
	global_load_b32 v16, v21, s[70:71]
	s_waitcnt vmcnt(0)
	v_cmp_nlt_f32_e64 s7, |v16|, 1.0
	s_delay_alu instid0(VALU_DEP_1)
	s_and_b32 vcc_lo, exec_lo, s7
	s_cbranch_vccnz .LBB1_120
; %bb.126:                              ;   in Loop: Header=BB1_121 Depth=4
	v_cmp_nle_f32_e32 vcc_lo, 0, v16
	v_and_b32_e32 v19, 0x7fffffff, v16
	v_mul_f32_e64 v17, |v15|, s37
	v_cndmask_b32_e64 v18, |v13|, -v14, vcc_lo
	s_branch .LBB1_128
	.p2align	6
.LBB1_127:                              ;   in Loop: Header=BB1_128 Depth=5
	v_add_f32_e32 v20, v16, v18
	v_dual_add_f32 v18, v18, v18 :: v_dual_mov_b32 v35, v16
	s_mov_b32 s7, -1
	s_delay_alu instid0(VALU_DEP_2) | instskip(SKIP_2) | instid1(VALU_DEP_2)
	v_and_b32_e32 v19, 0x7fffffff, v20
	v_cmp_nlt_f32_e64 s70, |v20|, 1.0
	v_mov_b32_e32 v16, v20
	s_and_not1_b32 vcc_lo, exec_lo, s70
	s_cbranch_vccz .LBB1_134
.LBB1_128:                              ;   Parent Loop BB1_12 Depth=1
                                        ;     Parent Loop BB1_23 Depth=2
                                        ;       Parent Loop BB1_71 Depth=3
                                        ;         Parent Loop BB1_121 Depth=4
                                        ; =>        This Inner Loop Header: Depth=5
	s_delay_alu instid0(VALU_DEP_3)
	v_cmp_ngt_f32_e32 vcc_lo, s37, v19
	s_cbranch_vccz .LBB1_130
; %bb.129:                              ;   in Loop: Header=BB1_128 Depth=5
	v_mul_f32_e32 v20, v25, v19
	s_mov_b32 s7, -1
	s_delay_alu instid0(VALU_DEP_1)
	v_cmp_gt_f32_e64 s70, |v15|, v20
	v_mov_b32_e32 v20, v16
	v_mov_b32_e32 v35, v16
	s_cbranch_execz .LBB1_131
	s_branch .LBB1_132
.LBB1_130:                              ;   in Loop: Header=BB1_128 Depth=5
	s_mov_b32 s70, 0
                                        ; implicit-def: $sgpr7
	v_mov_b32_e32 v20, v16
	v_mov_b32_e32 v35, v16
.LBB1_131:                              ;   in Loop: Header=BB1_128 Depth=5
	v_cmp_eq_f32_e32 vcc_lo, 0, v16
	v_cmp_gt_f32_e64 s7, v17, v19
	v_mov_b32_e32 v35, v16
                                        ; implicit-def: $vgpr20
	s_delay_alu instid0(VALU_DEP_2)
	s_or_b32 s70, vcc_lo, s7
	s_mov_b32 s7, 0
.LBB1_132:                              ;   in Loop: Header=BB1_128 Depth=5
	s_and_not1_b32 vcc_lo, exec_lo, s70
	s_cbranch_vccz .LBB1_127
; %bb.133:                              ;   in Loop: Header=BB1_121 Depth=4
                                        ; implicit-def: $vgpr18
                                        ; implicit-def: $vgpr19
	v_mov_b32_e32 v16, v20
.LBB1_134:                              ;   in Loop: Header=BB1_121 Depth=4
	s_and_not1_b32 vcc_lo, exec_lo, s7
	s_cbranch_vccz .LBB1_119
; %bb.135:                              ;   in Loop: Header=BB1_121 Depth=4
	v_mul_f32_e32 v15, v25, v15
	v_mul_f32_e32 v20, v25, v35
	s_branch .LBB1_119
.LBB1_136:                              ;   in Loop: Header=BB1_71 Depth=3
	s_or_b32 exec_lo, exec_lo, s35
	s_delay_alu instid0(SALU_CYCLE_1)
	s_and_not1_b32 vcc_lo, exec_lo, s69
	s_waitcnt_vscnt null, 0x0
	s_barrier
	buffer_gl0_inv
	s_cbranch_vccnz .LBB1_146
; %bb.137:                              ;   in Loop: Header=BB1_71 Depth=3
	s_and_b32 s7, s76, exec_lo
	s_cselect_b32 s7, s68, s104
	s_mov_b32 s104, s68
	s_cmp_eq_u32 s7, s68
	s_cbranch_scc1 .LBB1_146
; %bb.138:                              ;   in Loop: Header=BB1_71 Depth=3
	s_cmp_lt_i32 s7, s68
	s_cselect_b32 s8, -1, 0
	s_delay_alu instid0(SALU_CYCLE_1) | instskip(NEXT) | instid1(SALU_CYCLE_1)
	s_and_b32 s8, s2, s8
	s_and_saveexec_b32 s22, s8
	s_cbranch_execz .LBB1_145
; %bb.139:                              ;   in Loop: Header=BB1_71 Depth=3
	s_mul_i32 s8, s11, s7
	s_mov_b32 s72, s7
	s_add_i32 s35, s54, s8
	s_set_inst_prefetch_distance 0x1
	.p2align	6
.LBB1_140:                              ;   Parent Loop BB1_12 Depth=1
                                        ;     Parent Loop BB1_23 Depth=2
                                        ;       Parent Loop BB1_71 Depth=3
                                        ; =>      This Loop Header: Depth=4
                                        ;           Child Loop BB1_141 Depth 5
                                        ;           Child Loop BB1_143 Depth 5
	v_mov_b32_e32 v13, 0
	s_mov_b64 s[8:9], s[14:15]
	s_mov_b32 s70, s35
	s_mov_b32 s73, s26
.LBB1_141:                              ;   Parent Loop BB1_12 Depth=1
                                        ;     Parent Loop BB1_23 Depth=2
                                        ;       Parent Loop BB1_71 Depth=3
                                        ;         Parent Loop BB1_140 Depth=4
                                        ; =>        This Inner Loop Header: Depth=5
	s_ashr_i32 s71, s70, 31
	s_delay_alu instid0(SALU_CYCLE_1) | instskip(NEXT) | instid1(SALU_CYCLE_1)
	s_lshl_b64 s[74:75], s[70:71], 2
	s_add_u32 s74, s10, s74
	s_addc_u32 s75, s88, s75
	s_clause 0x1
	global_load_b32 v14, v21, s[8:9]
	global_load_b32 v15, v21, s[74:75]
	s_add_i32 s73, s73, -1
	s_add_i32 s70, s70, 1
	s_add_u32 s8, s8, 4
	s_addc_u32 s9, s9, 0
	s_cmp_lg_u32 s73, 0
	s_waitcnt vmcnt(0)
	v_fmac_f32_e32 v13, v14, v15
	s_cbranch_scc1 .LBB1_141
; %bb.142:                              ;   in Loop: Header=BB1_140 Depth=4
	s_mov_b32 s70, 0
	s_mov_b64 s[8:9], s[14:15]
	.p2align	6
.LBB1_143:                              ;   Parent Loop BB1_12 Depth=1
                                        ;     Parent Loop BB1_23 Depth=2
                                        ;       Parent Loop BB1_71 Depth=3
                                        ;         Parent Loop BB1_140 Depth=4
                                        ; =>        This Inner Loop Header: Depth=5
	s_add_i32 s74, s35, s70
	global_load_b32 v14, v21, s[8:9]
	s_ashr_i32 s75, s74, 31
	s_delay_alu instid0(SALU_CYCLE_1) | instskip(NEXT) | instid1(SALU_CYCLE_1)
	s_lshl_b64 s[74:75], s[74:75], 2
	s_add_u32 s74, s10, s74
	s_addc_u32 s75, s88, s75
	s_add_i32 s70, s70, 1
	global_load_b32 v15, v21, s[74:75]
	s_waitcnt vmcnt(0)
	v_fma_f32 v14, -v13, v15, v14
	global_store_b32 v21, v14, s[8:9]
	s_add_u32 s8, s8, 4
	s_addc_u32 s9, s9, 0
	s_cmp_lg_u32 s26, s70
	s_cbranch_scc1 .LBB1_143
; %bb.144:                              ;   in Loop: Header=BB1_140 Depth=4
	s_add_i32 s72, s72, 1
	s_add_i32 s35, s35, s11
	s_cmp_lt_i32 s72, s68
	s_cbranch_scc1 .LBB1_140
.LBB1_145:                              ;   in Loop: Header=BB1_71 Depth=3
	s_set_inst_prefetch_distance 0x2
	s_or_b32 exec_lo, exec_lo, s22
	s_mov_b32 s104, s7
	s_waitcnt_vscnt null, 0x0
	s_barrier
	buffer_gl0_inv
.LBB1_146:                              ;   in Loop: Header=BB1_71 Depth=3
	v_bfrev_b32_e32 v16, -2
	v_mov_b32_e32 v15, 0
	s_and_saveexec_b32 s8, s5
	s_cbranch_execz .LBB1_150
; %bb.147:                              ;   in Loop: Header=BB1_71 Depth=3
	v_dual_mov_b32 v15, 0 :: v_dual_mov_b32 v14, v2
	v_bfrev_b32_e32 v16, -2
	v_mov_b32_e32 v13, v1
	v_mov_b32_e32 v17, v0
	s_mov_b32 s9, 0
	.p2align	6
.LBB1_148:                              ;   Parent Loop BB1_12 Depth=1
                                        ;     Parent Loop BB1_23 Depth=2
                                        ;       Parent Loop BB1_71 Depth=3
                                        ; =>      This Inner Loop Header: Depth=4
	global_load_b32 v18, v[13:14], off
	v_cmp_eq_u32_e32 vcc_lo, 0x7fffffff, v16
	v_add_nc_u32_e32 v19, 1, v17
	v_add_co_u32 v13, s7, 0x400, v13
	s_delay_alu instid0(VALU_DEP_1) | instskip(SKIP_2) | instid1(VALU_DEP_1)
	v_add_co_ci_u32_e64 v14, s7, 0, v14, s7
	s_waitcnt vmcnt(0)
	v_cmp_lt_f32_e64 s22, v15, |v18|
	s_or_b32 vcc_lo, s22, vcc_lo
	v_dual_cndmask_b32 v16, v16, v19 :: v_dual_add_nc_u32 v17, 0x100, v17
	v_cndmask_b32_e64 v15, v15, |v18|, vcc_lo
	s_delay_alu instid0(VALU_DEP_2) | instskip(NEXT) | instid1(VALU_DEP_1)
	v_cmp_lt_i32_e64 s7, s58, v17
	s_or_b32 s9, s7, s9
	s_delay_alu instid0(SALU_CYCLE_1)
	s_and_not1_b32 exec_lo, exec_lo, s9
	s_cbranch_execnz .LBB1_148
; %bb.149:                              ;   in Loop: Header=BB1_71 Depth=3
	s_or_b32 exec_lo, exec_lo, s9
.LBB1_150:                              ;   in Loop: Header=BB1_71 Depth=3
	s_delay_alu instid0(SALU_CYCLE_1)
	s_or_b32 exec_lo, exec_lo, s8
	ds_store_2addr_stride64_b32 v23, v15, v16 offset1:8
	s_waitcnt lgkmcnt(0)
	s_barrier
	buffer_gl0_inv
	s_and_saveexec_b32 s8, s0
	s_cbranch_execz .LBB1_156
; %bb.151:                              ;   in Loop: Header=BB1_71 Depth=3
	ds_load_b32 v13, v23 offset:512
	ds_load_b32 v14, v24 offset:512
	s_mov_b32 s22, exec_lo
	s_waitcnt lgkmcnt(1)
	v_cmp_lt_f32_e64 s9, v15, v13
	v_cmpx_nlt_f32_e32 v15, v13
	s_cbranch_execz .LBB1_153
; %bb.152:                              ;   in Loop: Header=BB1_71 Depth=3
	v_cmp_eq_f32_e32 vcc_lo, v15, v13
	s_waitcnt lgkmcnt(0)
	v_cmp_gt_i32_e64 s7, v16, v14
	s_and_not1_b32 s9, s9, exec_lo
	s_delay_alu instid0(VALU_DEP_1) | instskip(NEXT) | instid1(SALU_CYCLE_1)
	s_and_b32 s7, vcc_lo, s7
	s_and_b32 s7, s7, exec_lo
	s_delay_alu instid0(SALU_CYCLE_1)
	s_or_b32 s9, s9, s7
.LBB1_153:                              ;   in Loop: Header=BB1_71 Depth=3
	s_or_b32 exec_lo, exec_lo, s22
	s_delay_alu instid0(VALU_DEP_2)
	s_and_saveexec_b32 s7, s9
	s_cbranch_execz .LBB1_155
; %bb.154:                              ;   in Loop: Header=BB1_71 Depth=3
	s_waitcnt lgkmcnt(0)
	v_dual_mov_b32 v16, v14 :: v_dual_mov_b32 v15, v13
	ds_store_2addr_stride64_b32 v23, v13, v14 offset1:8
.LBB1_155:                              ;   in Loop: Header=BB1_71 Depth=3
	s_or_b32 exec_lo, exec_lo, s7
.LBB1_156:                              ;   in Loop: Header=BB1_71 Depth=3
	s_delay_alu instid0(SALU_CYCLE_1)
	s_or_b32 exec_lo, exec_lo, s8
	s_waitcnt lgkmcnt(0)
	s_barrier
	buffer_gl0_inv
	s_and_saveexec_b32 s8, s1
	s_cbranch_execz .LBB1_162
; %bb.157:                              ;   in Loop: Header=BB1_71 Depth=3
	ds_load_b32 v13, v23 offset:256
	ds_load_b32 v14, v24 offset:256
	s_mov_b32 s22, exec_lo
	s_waitcnt lgkmcnt(1)
	v_cmp_lt_f32_e64 s9, v15, v13
	v_cmpx_nlt_f32_e32 v15, v13
	s_cbranch_execz .LBB1_159
; %bb.158:                              ;   in Loop: Header=BB1_71 Depth=3
	v_cmp_eq_f32_e32 vcc_lo, v15, v13
	s_waitcnt lgkmcnt(0)
	v_cmp_gt_i32_e64 s7, v16, v14
	s_and_not1_b32 s9, s9, exec_lo
	s_delay_alu instid0(VALU_DEP_1) | instskip(NEXT) | instid1(SALU_CYCLE_1)
	s_and_b32 s7, vcc_lo, s7
	s_and_b32 s7, s7, exec_lo
	s_delay_alu instid0(SALU_CYCLE_1)
	s_or_b32 s9, s9, s7
.LBB1_159:                              ;   in Loop: Header=BB1_71 Depth=3
	s_or_b32 exec_lo, exec_lo, s22
	s_delay_alu instid0(VALU_DEP_2)
	s_and_saveexec_b32 s7, s9
	s_cbranch_execz .LBB1_161
; %bb.160:                              ;   in Loop: Header=BB1_71 Depth=3
	s_waitcnt lgkmcnt(0)
	v_dual_mov_b32 v16, v14 :: v_dual_mov_b32 v15, v13
	ds_store_2addr_stride64_b32 v23, v13, v14 offset1:8
.LBB1_161:                              ;   in Loop: Header=BB1_71 Depth=3
	s_or_b32 exec_lo, exec_lo, s7
.LBB1_162:                              ;   in Loop: Header=BB1_71 Depth=3
	s_delay_alu instid0(SALU_CYCLE_1)
	s_or_b32 exec_lo, exec_lo, s8
	s_waitcnt lgkmcnt(0)
	s_barrier
	buffer_gl0_inv
	s_and_saveexec_b32 s9, s3
	s_cbranch_execz .LBB1_185
; %bb.163:                              ;   in Loop: Header=BB1_71 Depth=3
	ds_load_b32 v13, v23 offset:128
	ds_load_b32 v14, v24 offset:128
	s_mov_b32 s22, exec_lo
	s_waitcnt lgkmcnt(1)
	v_cmp_lt_f32_e64 s8, v15, v13
	v_cmpx_nlt_f32_e32 v15, v13
	s_cbranch_execz .LBB1_165
; %bb.164:                              ;   in Loop: Header=BB1_71 Depth=3
	v_cmp_eq_f32_e32 vcc_lo, v15, v13
	s_waitcnt lgkmcnt(0)
	v_cmp_gt_i32_e64 s7, v16, v14
	s_and_not1_b32 s8, s8, exec_lo
	s_delay_alu instid0(VALU_DEP_1) | instskip(NEXT) | instid1(SALU_CYCLE_1)
	s_and_b32 s7, vcc_lo, s7
	s_and_b32 s7, s7, exec_lo
	s_delay_alu instid0(SALU_CYCLE_1)
	s_or_b32 s8, s8, s7
.LBB1_165:                              ;   in Loop: Header=BB1_71 Depth=3
	s_or_b32 exec_lo, exec_lo, s22
	s_delay_alu instid0(VALU_DEP_2)
	s_and_saveexec_b32 s7, s8
	s_cbranch_execz .LBB1_167
; %bb.166:                              ;   in Loop: Header=BB1_71 Depth=3
	s_waitcnt lgkmcnt(0)
	v_dual_mov_b32 v15, v13 :: v_dual_mov_b32 v16, v14
	ds_store_2addr_stride64_b32 v23, v13, v14 offset1:8
.LBB1_167:                              ;   in Loop: Header=BB1_71 Depth=3
	s_or_b32 exec_lo, exec_lo, s7
	ds_load_b32 v13, v23 offset:64
	s_waitcnt lgkmcnt(1)
	ds_load_b32 v14, v24 offset:64
	s_mov_b32 s22, exec_lo
	s_waitcnt lgkmcnt(1)
	v_cmp_lt_f32_e64 s8, v15, v13
	v_cmpx_nlt_f32_e32 v15, v13
	s_cbranch_execz .LBB1_169
; %bb.168:                              ;   in Loop: Header=BB1_71 Depth=3
	v_cmp_eq_f32_e32 vcc_lo, v15, v13
	s_waitcnt lgkmcnt(0)
	v_cmp_gt_i32_e64 s7, v16, v14
	s_and_not1_b32 s8, s8, exec_lo
	s_delay_alu instid0(VALU_DEP_1) | instskip(NEXT) | instid1(SALU_CYCLE_1)
	s_and_b32 s7, vcc_lo, s7
	s_and_b32 s7, s7, exec_lo
	s_delay_alu instid0(SALU_CYCLE_1)
	s_or_b32 s8, s8, s7
.LBB1_169:                              ;   in Loop: Header=BB1_71 Depth=3
	s_or_b32 exec_lo, exec_lo, s22
	s_delay_alu instid0(VALU_DEP_2)
	s_and_saveexec_b32 s7, s8
	s_cbranch_execz .LBB1_171
; %bb.170:                              ;   in Loop: Header=BB1_71 Depth=3
	s_waitcnt lgkmcnt(0)
	v_dual_mov_b32 v15, v13 :: v_dual_mov_b32 v16, v14
	ds_store_2addr_stride64_b32 v23, v13, v14 offset1:8
.LBB1_171:                              ;   in Loop: Header=BB1_71 Depth=3
	s_or_b32 exec_lo, exec_lo, s7
	ds_load_b32 v13, v23 offset:32
	s_waitcnt lgkmcnt(1)
	;; [unrolled: 29-line block ×5, first 2 shown]
	ds_load_b32 v14, v24 offset:4
	s_waitcnt lgkmcnt(1)
	v_cmp_eq_f32_e32 vcc_lo, v15, v13
	s_waitcnt lgkmcnt(0)
	v_cmp_gt_i32_e64 s7, v16, v14
	v_cmp_lt_f32_e64 s8, v15, v13
	s_delay_alu instid0(VALU_DEP_2)
	s_and_b32 s7, vcc_lo, s7
	s_delay_alu instid0(VALU_DEP_1) | instid1(SALU_CYCLE_1)
	s_or_b32 s7, s8, s7
	s_delay_alu instid0(SALU_CYCLE_1)
	s_and_b32 exec_lo, exec_lo, s7
	s_cbranch_execz .LBB1_185
; %bb.184:                              ;   in Loop: Header=BB1_71 Depth=3
	ds_store_2addr_stride64_b32 v23, v13, v14 offset1:8
.LBB1_185:                              ;   in Loop: Header=BB1_71 Depth=3
	s_or_b32 exec_lo, exec_lo, s9
	s_waitcnt lgkmcnt(0)
	s_barrier
	buffer_gl0_inv
	ds_load_b32 v13, v28
	s_waitcnt lgkmcnt(0)
	v_cmp_ge_f32_e32 vcc_lo, v13, v32
	s_cmp_lg_u32 vcc_lo, 0
	s_addc_u32 s77, s77, 0
	s_add_i32 s7, s34, 1
	s_cmp_lt_u32 s34, 4
	s_cselect_b32 s9, -1, 0
	s_cmp_lt_u32 s77, 2
	s_cselect_b32 s8, -1, 0
	s_delay_alu instid0(SALU_CYCLE_1) | instskip(NEXT) | instid1(SALU_CYCLE_1)
	s_and_b32 s9, s9, s8
	s_and_b32 vcc_lo, exec_lo, s9
	s_cbranch_vccz .LBB1_187
; %bb.186:                              ;   in Loop: Header=BB1_71 Depth=3
	s_mov_b32 s34, s7
	v_bfrev_b32_e32 v16, -2
	v_mov_b32_e32 v15, 0
	s_and_saveexec_b32 s8, s5
	s_cbranch_execnz .LBB1_68
	s_branch .LBB1_71
.LBB1_187:                              ;   in Loop: Header=BB1_23 Depth=2
	s_and_b32 s8, s25, s8
	s_delay_alu instid0(SALU_CYCLE_1)
	s_and_saveexec_b32 s7, s8
	s_cbranch_execz .LBB1_189
; %bb.188:                              ;   in Loop: Header=BB1_23 Depth=2
	ds_load_b32 v13, v21
	s_add_i32 s8, s68, 1
	s_delay_alu instid0(SALU_CYCLE_1) | instskip(SKIP_2) | instid1(VALU_DEP_1)
	v_mov_b32_e32 v16, s8
	s_waitcnt lgkmcnt(0)
	v_ashrrev_i32_e32 v14, 31, v13
	v_lshlrev_b64 v[14:15], 2, v[13:14]
	v_add_nc_u32_e32 v13, 1, v13
	s_delay_alu instid0(VALU_DEP_2) | instskip(NEXT) | instid1(VALU_DEP_3)
	v_add_co_u32 v14, vcc_lo, s44, v14
	v_add_co_ci_u32_e32 v15, vcc_lo, s45, v15, vcc_lo
	flat_store_b32 v[14:15], v16
	ds_store_b32 v21, v13
.LBB1_189:                              ;   in Loop: Header=BB1_23 Depth=2
	s_or_b32 exec_lo, exec_lo, s7
	v_bfrev_b32_e32 v16, -2
	v_mov_b32_e32 v15, 0
	s_and_saveexec_b32 s8, s5
	s_cbranch_execz .LBB1_193
; %bb.190:                              ;   in Loop: Header=BB1_23 Depth=2
	v_dual_mov_b32 v15, 0 :: v_dual_mov_b32 v14, v2
	v_bfrev_b32_e32 v16, -2
	v_mov_b32_e32 v13, v1
	v_mov_b32_e32 v17, v0
	s_mov_b32 s9, 0
	.p2align	6
.LBB1_191:                              ;   Parent Loop BB1_12 Depth=1
                                        ;     Parent Loop BB1_23 Depth=2
                                        ; =>    This Inner Loop Header: Depth=3
	global_load_b32 v18, v[13:14], off
	v_cmp_eq_u32_e32 vcc_lo, 0x7fffffff, v16
	v_add_nc_u32_e32 v19, 1, v17
	v_add_co_u32 v13, s7, 0x400, v13
	s_delay_alu instid0(VALU_DEP_1) | instskip(SKIP_2) | instid1(VALU_DEP_1)
	v_add_co_ci_u32_e64 v14, s7, 0, v14, s7
	s_waitcnt vmcnt(0)
	v_cmp_lt_f32_e64 s22, v15, |v18|
	s_or_b32 vcc_lo, s22, vcc_lo
	v_dual_cndmask_b32 v16, v16, v19 :: v_dual_add_nc_u32 v17, 0x100, v17
	v_cndmask_b32_e64 v15, v15, |v18|, vcc_lo
	s_delay_alu instid0(VALU_DEP_2) | instskip(NEXT) | instid1(VALU_DEP_1)
	v_cmp_lt_i32_e64 s7, s58, v17
	s_or_b32 s9, s7, s9
	s_delay_alu instid0(SALU_CYCLE_1)
	s_and_not1_b32 exec_lo, exec_lo, s9
	s_cbranch_execnz .LBB1_191
; %bb.192:                              ;   in Loop: Header=BB1_23 Depth=2
	s_or_b32 exec_lo, exec_lo, s9
.LBB1_193:                              ;   in Loop: Header=BB1_23 Depth=2
	s_delay_alu instid0(SALU_CYCLE_1)
	s_or_b32 exec_lo, exec_lo, s8
	ds_store_2addr_stride64_b32 v23, v15, v16 offset1:8
	s_waitcnt lgkmcnt(0)
	s_waitcnt_vscnt null, 0x0
	s_barrier
	buffer_gl0_inv
	s_and_saveexec_b32 s8, s0
	s_cbranch_execz .LBB1_199
; %bb.194:                              ;   in Loop: Header=BB1_23 Depth=2
	ds_load_b32 v13, v23 offset:512
	ds_load_b32 v14, v24 offset:512
	s_mov_b32 s22, exec_lo
	s_waitcnt lgkmcnt(1)
	v_cmp_lt_f32_e64 s9, v15, v13
	v_cmpx_nlt_f32_e32 v15, v13
	s_cbranch_execz .LBB1_196
; %bb.195:                              ;   in Loop: Header=BB1_23 Depth=2
	v_cmp_eq_f32_e32 vcc_lo, v15, v13
	s_waitcnt lgkmcnt(0)
	v_cmp_gt_i32_e64 s7, v16, v14
	s_and_not1_b32 s9, s9, exec_lo
	s_delay_alu instid0(VALU_DEP_1) | instskip(NEXT) | instid1(SALU_CYCLE_1)
	s_and_b32 s7, vcc_lo, s7
	s_and_b32 s7, s7, exec_lo
	s_delay_alu instid0(SALU_CYCLE_1)
	s_or_b32 s9, s9, s7
.LBB1_196:                              ;   in Loop: Header=BB1_23 Depth=2
	s_or_b32 exec_lo, exec_lo, s22
	s_delay_alu instid0(VALU_DEP_2)
	s_and_saveexec_b32 s7, s9
	s_cbranch_execz .LBB1_198
; %bb.197:                              ;   in Loop: Header=BB1_23 Depth=2
	s_waitcnt lgkmcnt(0)
	v_dual_mov_b32 v16, v14 :: v_dual_mov_b32 v15, v13
	ds_store_2addr_stride64_b32 v23, v13, v14 offset1:8
.LBB1_198:                              ;   in Loop: Header=BB1_23 Depth=2
	s_or_b32 exec_lo, exec_lo, s7
.LBB1_199:                              ;   in Loop: Header=BB1_23 Depth=2
	s_delay_alu instid0(SALU_CYCLE_1)
	s_or_b32 exec_lo, exec_lo, s8
	s_waitcnt lgkmcnt(0)
	s_barrier
	buffer_gl0_inv
	s_and_saveexec_b32 s8, s1
	s_cbranch_execz .LBB1_205
; %bb.200:                              ;   in Loop: Header=BB1_23 Depth=2
	ds_load_b32 v13, v23 offset:256
	ds_load_b32 v14, v24 offset:256
	s_mov_b32 s22, exec_lo
	s_waitcnt lgkmcnt(1)
	v_cmp_lt_f32_e64 s9, v15, v13
	v_cmpx_nlt_f32_e32 v15, v13
	s_cbranch_execz .LBB1_202
; %bb.201:                              ;   in Loop: Header=BB1_23 Depth=2
	v_cmp_eq_f32_e32 vcc_lo, v15, v13
	s_waitcnt lgkmcnt(0)
	v_cmp_gt_i32_e64 s7, v16, v14
	s_and_not1_b32 s9, s9, exec_lo
	s_delay_alu instid0(VALU_DEP_1) | instskip(NEXT) | instid1(SALU_CYCLE_1)
	s_and_b32 s7, vcc_lo, s7
	s_and_b32 s7, s7, exec_lo
	s_delay_alu instid0(SALU_CYCLE_1)
	s_or_b32 s9, s9, s7
.LBB1_202:                              ;   in Loop: Header=BB1_23 Depth=2
	s_or_b32 exec_lo, exec_lo, s22
	s_delay_alu instid0(VALU_DEP_2)
	s_and_saveexec_b32 s7, s9
	s_cbranch_execz .LBB1_204
; %bb.203:                              ;   in Loop: Header=BB1_23 Depth=2
	s_waitcnt lgkmcnt(0)
	v_dual_mov_b32 v16, v14 :: v_dual_mov_b32 v15, v13
	ds_store_2addr_stride64_b32 v23, v13, v14 offset1:8
.LBB1_204:                              ;   in Loop: Header=BB1_23 Depth=2
	s_or_b32 exec_lo, exec_lo, s7
.LBB1_205:                              ;   in Loop: Header=BB1_23 Depth=2
	s_delay_alu instid0(SALU_CYCLE_1)
	s_or_b32 exec_lo, exec_lo, s8
	s_waitcnt lgkmcnt(0)
	s_barrier
	buffer_gl0_inv
	s_and_saveexec_b32 s9, s3
	s_cbranch_execz .LBB1_228
; %bb.206:                              ;   in Loop: Header=BB1_23 Depth=2
	ds_load_b32 v13, v23 offset:128
	ds_load_b32 v14, v24 offset:128
	s_mov_b32 s22, exec_lo
	s_waitcnt lgkmcnt(1)
	v_cmp_lt_f32_e64 s8, v15, v13
	v_cmpx_nlt_f32_e32 v15, v13
	s_cbranch_execz .LBB1_208
; %bb.207:                              ;   in Loop: Header=BB1_23 Depth=2
	v_cmp_eq_f32_e32 vcc_lo, v15, v13
	s_waitcnt lgkmcnt(0)
	v_cmp_gt_i32_e64 s7, v16, v14
	s_and_not1_b32 s8, s8, exec_lo
	s_delay_alu instid0(VALU_DEP_1) | instskip(NEXT) | instid1(SALU_CYCLE_1)
	s_and_b32 s7, vcc_lo, s7
	s_and_b32 s7, s7, exec_lo
	s_delay_alu instid0(SALU_CYCLE_1)
	s_or_b32 s8, s8, s7
.LBB1_208:                              ;   in Loop: Header=BB1_23 Depth=2
	s_or_b32 exec_lo, exec_lo, s22
	s_delay_alu instid0(VALU_DEP_2)
	s_and_saveexec_b32 s7, s8
	s_cbranch_execz .LBB1_210
; %bb.209:                              ;   in Loop: Header=BB1_23 Depth=2
	s_waitcnt lgkmcnt(0)
	v_dual_mov_b32 v15, v13 :: v_dual_mov_b32 v16, v14
	ds_store_2addr_stride64_b32 v23, v13, v14 offset1:8
.LBB1_210:                              ;   in Loop: Header=BB1_23 Depth=2
	s_or_b32 exec_lo, exec_lo, s7
	ds_load_b32 v13, v23 offset:64
	s_waitcnt lgkmcnt(1)
	ds_load_b32 v14, v24 offset:64
	s_mov_b32 s22, exec_lo
	s_waitcnt lgkmcnt(1)
	v_cmp_lt_f32_e64 s8, v15, v13
	v_cmpx_nlt_f32_e32 v15, v13
	s_cbranch_execz .LBB1_212
; %bb.211:                              ;   in Loop: Header=BB1_23 Depth=2
	v_cmp_eq_f32_e32 vcc_lo, v15, v13
	s_waitcnt lgkmcnt(0)
	v_cmp_gt_i32_e64 s7, v16, v14
	s_and_not1_b32 s8, s8, exec_lo
	s_delay_alu instid0(VALU_DEP_1) | instskip(NEXT) | instid1(SALU_CYCLE_1)
	s_and_b32 s7, vcc_lo, s7
	s_and_b32 s7, s7, exec_lo
	s_delay_alu instid0(SALU_CYCLE_1)
	s_or_b32 s8, s8, s7
.LBB1_212:                              ;   in Loop: Header=BB1_23 Depth=2
	s_or_b32 exec_lo, exec_lo, s22
	s_delay_alu instid0(VALU_DEP_2)
	s_and_saveexec_b32 s7, s8
	s_cbranch_execz .LBB1_214
; %bb.213:                              ;   in Loop: Header=BB1_23 Depth=2
	s_waitcnt lgkmcnt(0)
	v_dual_mov_b32 v15, v13 :: v_dual_mov_b32 v16, v14
	ds_store_2addr_stride64_b32 v23, v13, v14 offset1:8
.LBB1_214:                              ;   in Loop: Header=BB1_23 Depth=2
	s_or_b32 exec_lo, exec_lo, s7
	ds_load_b32 v13, v23 offset:32
	s_waitcnt lgkmcnt(1)
	;; [unrolled: 29-line block ×5, first 2 shown]
	ds_load_b32 v14, v24 offset:4
	s_waitcnt lgkmcnt(1)
	v_cmp_eq_f32_e32 vcc_lo, v15, v13
	s_waitcnt lgkmcnt(0)
	v_cmp_gt_i32_e64 s7, v16, v14
	v_cmp_lt_f32_e64 s8, v15, v13
	s_delay_alu instid0(VALU_DEP_2)
	s_and_b32 s7, vcc_lo, s7
	s_delay_alu instid0(VALU_DEP_1) | instid1(SALU_CYCLE_1)
	s_or_b32 s7, s8, s7
	s_delay_alu instid0(SALU_CYCLE_1)
	s_and_b32 exec_lo, exec_lo, s7
	s_cbranch_execz .LBB1_228
; %bb.227:                              ;   in Loop: Header=BB1_23 Depth=2
	ds_store_2addr_stride64_b32 v23, v13, v14 offset1:8
.LBB1_228:                              ;   in Loop: Header=BB1_23 Depth=2
	s_or_b32 exec_lo, exec_lo, s9
	v_mov_b32_e32 v15, 0
	s_and_saveexec_b32 s8, s5
	s_cbranch_execz .LBB1_232
; %bb.229:                              ;   in Loop: Header=BB1_23 Depth=2
	v_dual_mov_b32 v15, 0 :: v_dual_mov_b32 v14, v2
	v_dual_mov_b32 v13, v1 :: v_dual_mov_b32 v16, v0
	s_mov_b32 s9, 0
.LBB1_230:                              ;   Parent Loop BB1_12 Depth=1
                                        ;     Parent Loop BB1_23 Depth=2
                                        ; =>    This Inner Loop Header: Depth=3
	global_load_b32 v17, v[13:14], off
	v_add_nc_u32_e32 v16, 0x100, v16
	v_add_co_u32 v13, vcc_lo, 0x400, v13
	v_add_co_ci_u32_e32 v14, vcc_lo, 0, v14, vcc_lo
	s_waitcnt vmcnt(0)
	v_fmac_f32_e32 v15, v17, v17
	v_cmp_lt_i32_e64 s7, s58, v16
	s_delay_alu instid0(VALU_DEP_1) | instskip(NEXT) | instid1(SALU_CYCLE_1)
	s_or_b32 s9, s7, s9
	s_and_not1_b32 exec_lo, exec_lo, s9
	s_cbranch_execnz .LBB1_230
; %bb.231:                              ;   in Loop: Header=BB1_23 Depth=2
	s_or_b32 exec_lo, exec_lo, s9
.LBB1_232:                              ;   in Loop: Header=BB1_23 Depth=2
	s_delay_alu instid0(SALU_CYCLE_1)
	s_or_b32 exec_lo, exec_lo, s8
	ds_store_b32 v23, v15 offset:1024
	s_waitcnt lgkmcnt(0)
	s_barrier
	buffer_gl0_inv
	s_and_saveexec_b32 s7, s0
	s_cbranch_execz .LBB1_234
; %bb.233:                              ;   in Loop: Header=BB1_23 Depth=2
	ds_load_b32 v13, v23 offset:1536
	s_waitcnt lgkmcnt(0)
	v_add_f32_e32 v15, v15, v13
.LBB1_234:                              ;   in Loop: Header=BB1_23 Depth=2
	s_or_b32 exec_lo, exec_lo, s7
	s_barrier
	buffer_gl0_inv
	s_and_saveexec_b32 s7, s0
	s_cbranch_execz .LBB1_236
; %bb.235:                              ;   in Loop: Header=BB1_23 Depth=2
	ds_store_b32 v23, v15 offset:1024
.LBB1_236:                              ;   in Loop: Header=BB1_23 Depth=2
	s_or_b32 exec_lo, exec_lo, s7
	s_waitcnt lgkmcnt(0)
	s_barrier
	buffer_gl0_inv
	s_and_saveexec_b32 s7, s1
	s_cbranch_execz .LBB1_238
; %bb.237:                              ;   in Loop: Header=BB1_23 Depth=2
	ds_load_b32 v13, v23 offset:1280
	s_waitcnt lgkmcnt(0)
	v_add_f32_e32 v15, v15, v13
.LBB1_238:                              ;   in Loop: Header=BB1_23 Depth=2
	s_or_b32 exec_lo, exec_lo, s7
	s_barrier
	buffer_gl0_inv
	s_and_saveexec_b32 s7, s1
	s_cbranch_execz .LBB1_240
; %bb.239:                              ;   in Loop: Header=BB1_23 Depth=2
	ds_store_b32 v23, v15 offset:1024
.LBB1_240:                              ;   in Loop: Header=BB1_23 Depth=2
	s_or_b32 exec_lo, exec_lo, s7
	s_waitcnt lgkmcnt(0)
	s_barrier
	buffer_gl0_inv
	s_and_saveexec_b32 s7, s3
	s_cbranch_execz .LBB1_242
; %bb.241:                              ;   in Loop: Header=BB1_23 Depth=2
	v_add_nc_u32_e32 v15, 0x400, v23
	ds_load_2addr_b32 v[13:14], v15 offset1:32
	s_waitcnt lgkmcnt(0)
	v_add_f32_e32 v13, v13, v14
	ds_store_b32 v23, v13 offset:1024
	s_waitcnt lgkmcnt(0)
	buffer_gl1_inv
	buffer_gl0_inv
	ds_load_2addr_b32 v[13:14], v15 offset1:16
	s_waitcnt lgkmcnt(0)
	v_add_f32_e32 v13, v13, v14
	ds_store_b32 v23, v13 offset:1024
	s_waitcnt lgkmcnt(0)
	buffer_gl1_inv
	buffer_gl0_inv
	;; [unrolled: 7-line block ×4, first 2 shown]
	ds_load_2addr_b32 v[13:14], v15 offset1:2
	s_waitcnt lgkmcnt(0)
	v_dual_add_f32 v13, v13, v14 :: v_dual_add_nc_u32 v14, 0x400, v23
	ds_store_b32 v23, v13 offset:1024
	s_waitcnt lgkmcnt(0)
	buffer_gl1_inv
	buffer_gl0_inv
	ds_load_2addr_b32 v[13:14], v14 offset1:1
	s_waitcnt lgkmcnt(0)
	v_add_f32_e32 v13, v13, v14
	ds_store_b32 v23, v13 offset:1024
	s_waitcnt lgkmcnt(0)
	buffer_gl1_inv
	buffer_gl0_inv
.LBB1_242:                              ;   in Loop: Header=BB1_23 Depth=2
	s_or_b32 exec_lo, exec_lo, s7
	s_and_saveexec_b32 s8, s2
	s_cbranch_execz .LBB1_244
; %bb.243:                              ;   in Loop: Header=BB1_23 Depth=2
	ds_load_b32 v13, v28 offset:1024
	s_waitcnt lgkmcnt(0)
	v_mul_f32_e32 v14, 0x4f800000, v13
	v_cmp_gt_f32_e32 vcc_lo, 0xf800000, v13
	s_delay_alu instid0(VALU_DEP_2) | instskip(NEXT) | instid1(VALU_DEP_1)
	v_cndmask_b32_e32 v13, v13, v14, vcc_lo
	v_sqrt_f32_e32 v14, v13
	s_waitcnt_depctr 0xfff
	v_add_nc_u32_e32 v15, -1, v14
	v_add_nc_u32_e32 v16, 1, v14
	s_delay_alu instid0(VALU_DEP_2) | instskip(NEXT) | instid1(VALU_DEP_2)
	v_fma_f32 v17, -v15, v14, v13
	v_fma_f32 v18, -v16, v14, v13
	s_delay_alu instid0(VALU_DEP_2) | instskip(NEXT) | instid1(VALU_DEP_1)
	v_cmp_ge_f32_e64 s7, 0, v17
	v_cndmask_b32_e64 v14, v14, v15, s7
	s_delay_alu instid0(VALU_DEP_3) | instskip(NEXT) | instid1(VALU_DEP_1)
	v_cmp_lt_f32_e64 s7, 0, v18
	v_cndmask_b32_e64 v14, v14, v16, s7
	s_delay_alu instid0(VALU_DEP_1) | instskip(NEXT) | instid1(VALU_DEP_1)
	v_mul_f32_e32 v15, 0x37800000, v14
	v_cndmask_b32_e32 v14, v14, v15, vcc_lo
	v_cmp_class_f32_e64 vcc_lo, v13, 0x260
	s_delay_alu instid0(VALU_DEP_2)
	v_cndmask_b32_e32 v13, v14, v13, vcc_lo
	ds_store_b32 v28, v13 offset:1024
.LBB1_244:                              ;   in Loop: Header=BB1_23 Depth=2
	s_or_b32 exec_lo, exec_lo, s8
	s_waitcnt lgkmcnt(0)
	s_barrier
	buffer_gl0_inv
	ds_load_2addr_stride64_b32 v[13:14], v28 offset0:4 offset1:8
	s_waitcnt lgkmcnt(0)
	v_ashrrev_i32_e32 v15, 31, v14
	s_delay_alu instid0(VALU_DEP_1) | instskip(NEXT) | instid1(VALU_DEP_1)
	v_lshlrev_b64 v[14:15], 2, v[14:15]
	v_add_co_u32 v14, vcc_lo, s95, v14
	s_delay_alu instid0(VALU_DEP_2)
	v_add_co_ci_u32_e32 v15, vcc_lo, s96, v15, vcc_lo
	global_load_b32 v14, v[14:15], off
	s_waitcnt vmcnt(0)
	s_barrier
	buffer_gl0_inv
	s_and_saveexec_b32 s8, s5
	s_cbranch_execz .LBB1_247
; %bb.245:                              ;   in Loop: Header=BB1_23 Depth=2
	v_cmp_nle_f32_e32 vcc_lo, 0, v14
	s_mov_b32 s9, 0
	v_cndmask_b32_e64 v16, 1.0, -1.0, vcc_lo
	s_delay_alu instid0(VALU_DEP_1) | instskip(SKIP_1) | instid1(VALU_DEP_2)
	v_div_scale_f32 v14, null, v13, v13, v16
	v_div_scale_f32 v18, vcc_lo, v16, v13, v16
	v_rcp_f32_e32 v15, v14
	s_waitcnt_depctr 0xfff
	v_fma_f32 v17, -v14, v15, 1.0
	s_delay_alu instid0(VALU_DEP_1) | instskip(NEXT) | instid1(VALU_DEP_1)
	v_fmac_f32_e32 v15, v17, v15
	v_mul_f32_e32 v17, v18, v15
	s_delay_alu instid0(VALU_DEP_1) | instskip(NEXT) | instid1(VALU_DEP_1)
	v_fma_f32 v19, -v14, v17, v18
	v_fmac_f32_e32 v17, v19, v15
	s_delay_alu instid0(VALU_DEP_1) | instskip(NEXT) | instid1(VALU_DEP_1)
	v_fma_f32 v14, -v14, v17, v18
	v_div_fmas_f32 v17, v14, v15, v17
	v_dual_mov_b32 v15, v2 :: v_dual_mov_b32 v14, v1
	s_delay_alu instid0(VALU_DEP_2)
	v_div_fixup_f32 v13, v17, v13, v16
	v_mov_b32_e32 v16, v0
.LBB1_246:                              ;   Parent Loop BB1_12 Depth=1
                                        ;     Parent Loop BB1_23 Depth=2
                                        ; =>    This Inner Loop Header: Depth=3
	global_load_b32 v17, v[14:15], off
	s_waitcnt vmcnt(0)
	v_dual_mul_f32 v17, v13, v17 :: v_dual_add_nc_u32 v16, 0x100, v16
	s_delay_alu instid0(VALU_DEP_1) | instskip(SKIP_2) | instid1(VALU_DEP_1)
	v_cmp_lt_i32_e32 vcc_lo, s58, v16
	global_store_b32 v[14:15], v17, off
	v_add_co_u32 v14, s7, 0x400, v14
	v_add_co_ci_u32_e64 v15, s7, 0, v15, s7
	s_or_b32 s9, vcc_lo, s9
	s_delay_alu instid0(SALU_CYCLE_1)
	s_and_not1_b32 exec_lo, exec_lo, s9
	s_cbranch_execnz .LBB1_246
.LBB1_247:                              ;   in Loop: Header=BB1_23 Depth=2
	s_or_b32 exec_lo, exec_lo, s8
	s_waitcnt_vscnt null, 0x0
	s_barrier
.LBB1_248:                              ;   in Loop: Header=BB1_23 Depth=2
	s_waitcnt vmcnt(0)
	s_waitcnt_vscnt null, 0x0
	buffer_gl0_inv
	s_and_saveexec_b32 s8, s4
	s_cbranch_execz .LBB1_22
; %bb.249:                              ;   in Loop: Header=BB1_23 Depth=2
	v_dual_mov_b32 v14, v12 :: v_dual_mov_b32 v13, v11
	v_mov_b32_e32 v15, v0
	s_mov_b32 s9, 0
	s_set_inst_prefetch_distance 0x1
	s_branch .LBB1_251
	.p2align	6
.LBB1_250:                              ;   in Loop: Header=BB1_251 Depth=3
	s_or_b32 exec_lo, exec_lo, s7
	v_add_nc_u32_e32 v17, s27, v15
	v_add_nc_u32_e32 v15, 0x100, v15
	s_delay_alu instid0(VALU_DEP_2) | instskip(NEXT) | instid1(VALU_DEP_2)
	v_ashrrev_i32_e32 v18, 31, v17
	v_cmp_le_i32_e32 vcc_lo, s24, v15
	s_delay_alu instid0(VALU_DEP_2) | instskip(SKIP_1) | instid1(VALU_DEP_1)
	v_lshlrev_b64 v[17:18], 2, v[17:18]
	s_or_b32 s9, vcc_lo, s9
	v_add_co_u32 v17, s7, s10, v17
	s_delay_alu instid0(VALU_DEP_1) | instskip(SKIP_1) | instid1(VALU_DEP_1)
	v_add_co_ci_u32_e64 v18, s7, s88, v18, s7
	v_add_co_u32 v13, s7, 0x400, v13
	v_add_co_ci_u32_e64 v14, s7, 0, v14, s7
	s_waitcnt vmcnt(0)
	global_store_b32 v[17:18], v16, off
	s_and_not1_b32 exec_lo, exec_lo, s9
	s_cbranch_execz .LBB1_22
.LBB1_251:                              ;   Parent Loop BB1_12 Depth=1
                                        ;     Parent Loop BB1_23 Depth=2
                                        ; =>    This Inner Loop Header: Depth=3
	s_delay_alu instid0(VALU_DEP_1) | instskip(SKIP_2) | instid1(VALU_DEP_2)
	v_cmp_le_i32_e32 vcc_lo, s54, v15
	v_cmp_gt_i32_e64 s7, s56, v15
	v_mov_b32_e32 v16, 0
	s_and_b32 s22, vcc_lo, s7
	s_delay_alu instid0(SALU_CYCLE_1)
	s_and_saveexec_b32 s7, s22
	s_cbranch_execz .LBB1_250
; %bb.252:                              ;   in Loop: Header=BB1_251 Depth=3
	global_load_b32 v16, v[13:14], off
	s_branch .LBB1_250
.LBB1_253:
	s_and_saveexec_b32 s0, s2
	s_cbranch_execz .LBB1_255
; %bb.254:
	v_mov_b32_e32 v0, 0
	v_readlane_b32 s4, v44, 2
	v_readlane_b32 s10, v44, 8
	;; [unrolled: 1-line block ×4, first 2 shown]
	ds_load_b32 v1, v0
	v_readlane_b32 s1, v44, 1
	v_readlane_b32 s6, v44, 4
	;; [unrolled: 1-line block ×3, first 2 shown]
	s_mov_b64 s[6:7], s[10:11]
	v_readlane_b32 s5, v44, 3
	s_add_u32 s0, s6, s0
	s_addc_u32 s1, s7, s1
	v_readlane_b32 s8, v44, 6
	v_readlane_b32 s9, v44, 7
	s_waitcnt lgkmcnt(0)
	global_store_b32 v0, v1, s[0:1]
.LBB1_255:
	s_endpgm
	.section	.rodata,"a",@progbits
	.p2align	6, 0x0
	.amdhsa_kernel _ZN9rocsolver6v33100L12stein_kernelIffPfEEviPT0_lS4_lPiS4_lS5_lS5_lT1_iilS5_lS5_S4_S5_S3_S3_
		.amdhsa_group_segment_fixed_size 8
		.amdhsa_private_segment_fixed_size 0
		.amdhsa_kernarg_size 168
		.amdhsa_user_sgpr_count 14
		.amdhsa_user_sgpr_dispatch_ptr 0
		.amdhsa_user_sgpr_queue_ptr 0
		.amdhsa_user_sgpr_kernarg_segment_ptr 1
		.amdhsa_user_sgpr_dispatch_id 0
		.amdhsa_user_sgpr_private_segment_size 0
		.amdhsa_wavefront_size32 1
		.amdhsa_uses_dynamic_stack 0
		.amdhsa_enable_private_segment 0
		.amdhsa_system_sgpr_workgroup_id_x 1
		.amdhsa_system_sgpr_workgroup_id_y 1
		.amdhsa_system_sgpr_workgroup_id_z 0
		.amdhsa_system_sgpr_workgroup_info 0
		.amdhsa_system_vgpr_workitem_id 0
		.amdhsa_next_free_vgpr 45
		.amdhsa_next_free_sgpr 105
		.amdhsa_reserve_vcc 1
		.amdhsa_float_round_mode_32 0
		.amdhsa_float_round_mode_16_64 0
		.amdhsa_float_denorm_mode_32 3
		.amdhsa_float_denorm_mode_16_64 3
		.amdhsa_dx10_clamp 1
		.amdhsa_ieee_mode 1
		.amdhsa_fp16_overflow 0
		.amdhsa_workgroup_processor_mode 1
		.amdhsa_memory_ordered 1
		.amdhsa_forward_progress 0
		.amdhsa_shared_vgpr_count 0
		.amdhsa_exception_fp_ieee_invalid_op 0
		.amdhsa_exception_fp_denorm_src 0
		.amdhsa_exception_fp_ieee_div_zero 0
		.amdhsa_exception_fp_ieee_overflow 0
		.amdhsa_exception_fp_ieee_underflow 0
		.amdhsa_exception_fp_ieee_inexact 0
		.amdhsa_exception_int_div_zero 0
	.end_amdhsa_kernel
	.section	.text._ZN9rocsolver6v33100L12stein_kernelIffPfEEviPT0_lS4_lPiS4_lS5_lS5_lT1_iilS5_lS5_S4_S5_S3_S3_,"axG",@progbits,_ZN9rocsolver6v33100L12stein_kernelIffPfEEviPT0_lS4_lPiS4_lS5_lS5_lT1_iilS5_lS5_S4_S5_S3_S3_,comdat
.Lfunc_end1:
	.size	_ZN9rocsolver6v33100L12stein_kernelIffPfEEviPT0_lS4_lPiS4_lS5_lS5_lT1_iilS5_lS5_S4_S5_S3_S3_, .Lfunc_end1-_ZN9rocsolver6v33100L12stein_kernelIffPfEEviPT0_lS4_lPiS4_lS5_lS5_lT1_iilS5_lS5_S4_S5_S3_S3_
                                        ; -- End function
	.section	.AMDGPU.csdata,"",@progbits
; Kernel info:
; codeLenInByte = 11096
; NumSgprs: 107
; NumVgprs: 45
; ScratchSize: 0
; MemoryBound: 0
; FloatMode: 240
; IeeeMode: 1
; LDSByteSize: 8 bytes/workgroup (compile time only)
; SGPRBlocks: 13
; VGPRBlocks: 5
; NumSGPRsForWavesPerEU: 107
; NumVGPRsForWavesPerEU: 45
; Occupancy: 16
; WaveLimiterHint : 1
; COMPUTE_PGM_RSRC2:SCRATCH_EN: 0
; COMPUTE_PGM_RSRC2:USER_SGPR: 14
; COMPUTE_PGM_RSRC2:TRAP_HANDLER: 0
; COMPUTE_PGM_RSRC2:TGID_X_EN: 1
; COMPUTE_PGM_RSRC2:TGID_Y_EN: 1
; COMPUTE_PGM_RSRC2:TGID_Z_EN: 0
; COMPUTE_PGM_RSRC2:TIDIG_COMP_CNT: 0
	.section	.text._ZN9rocsolver6v33100L12stein_kernelIddPdEEviPT0_lS4_lPiS4_lS5_lS5_lT1_iilS5_lS5_S4_S5_S3_S3_,"axG",@progbits,_ZN9rocsolver6v33100L12stein_kernelIddPdEEviPT0_lS4_lPiS4_lS5_lS5_lT1_iilS5_lS5_S4_S5_S3_S3_,comdat
	.globl	_ZN9rocsolver6v33100L12stein_kernelIddPdEEviPT0_lS4_lPiS4_lS5_lS5_lT1_iilS5_lS5_S4_S5_S3_S3_ ; -- Begin function _ZN9rocsolver6v33100L12stein_kernelIddPdEEviPT0_lS4_lPiS4_lS5_lS5_lT1_iilS5_lS5_S4_S5_S3_S3_
	.p2align	8
	.type	_ZN9rocsolver6v33100L12stein_kernelIddPdEEviPT0_lS4_lPiS4_lS5_lS5_lT1_iilS5_lS5_S4_S5_S3_S3_,@function
_ZN9rocsolver6v33100L12stein_kernelIddPdEEviPT0_lS4_lPiS4_lS5_lS5_lT1_iilS5_lS5_S4_S5_S3_S3_: ; @_ZN9rocsolver6v33100L12stein_kernelIddPdEEviPT0_lS4_lPiS4_lS5_lS5_lT1_iilS5_lS5_S4_S5_S3_S3_
; %bb.0:
	s_load_b512 s[36:51], s[0:1], 0x8
	s_mov_b32 s52, s15
	s_ashr_i32 s53, s15, 31
	s_delay_alu instid0(SALU_CYCLE_1)
	s_lshl_b64 s[4:5], s[52:53], 2
	s_waitcnt lgkmcnt(0)
	s_add_u32 s2, s44, s4
	s_addc_u32 s3, s45, s5
	s_load_b32 s30, s[2:3], 0x0
	s_waitcnt lgkmcnt(0)
	s_cmp_lt_i32 s30, 1
	s_cbranch_scc1 .LBB2_258
; %bb.1:
                                        ; implicit-def: $vgpr61 : SGPR spill to VGPR lane
	s_mov_b64 s[34:35], 0
	v_writelane_b32 v61, s4, 0
	v_writelane_b32 v61, s5, 1
	s_load_b512 s[4:19], s[0:1], 0x70
	s_waitcnt lgkmcnt(0)
	s_cmp_eq_u64 s[6:7], 0
	s_cbranch_scc1 .LBB2_3
; %bb.2:
	s_mul_i32 s2, s52, s9
	s_mul_hi_u32 s3, s52, s8
	s_mul_i32 s9, s53, s8
	s_add_i32 s2, s3, s2
	s_delay_alu instid0(SALU_CYCLE_1) | instskip(SKIP_1) | instid1(SALU_CYCLE_1)
	s_add_i32 s3, s2, s9
	s_mul_i32 s2, s52, s8
	s_lshl_b64 s[2:3], s[2:3], 2
	s_delay_alu instid0(SALU_CYCLE_1)
	s_add_u32 s34, s6, s2
	s_addc_u32 s35, s7, s3
.LBB2_3:
	v_cmp_eq_u32_e64 s2, 0, v0
	s_delay_alu instid0(VALU_DEP_1)
	s_and_saveexec_b32 s3, s2
	s_cbranch_execz .LBB2_5
; %bb.4:
	v_mov_b32_e32 v1, 0
	ds_store_b32 v1, v1
.LBB2_5:
	s_or_b32 exec_lo, exec_lo, s3
	v_cmp_gt_u32_e32 vcc_lo, s30, v0
	s_cmp_lg_u64 s[34:35], 0
	v_lshlrev_b32_e32 v47, 2, v0
	s_cselect_b32 s8, -1, 0
	s_delay_alu instid0(SALU_CYCLE_1) | instskip(NEXT) | instid1(SALU_CYCLE_1)
	s_and_b32 s3, vcc_lo, s8
	s_and_saveexec_b32 s6, s3
	s_cbranch_execz .LBB2_8
; %bb.6:
	v_add_co_u32 v1, s3, s34, v47
	v_dual_mov_b32 v3, 0 :: v_dual_mov_b32 v4, v0
	v_add_co_ci_u32_e64 v2, null, s35, 0, s3
	s_mov_b32 s7, 0
.LBB2_7:                                ; =>This Inner Loop Header: Depth=1
	s_delay_alu instid0(VALU_DEP_2) | instskip(SKIP_2) | instid1(VALU_DEP_1)
	v_add_nc_u32_e32 v4, 0x100, v4
	flat_store_b32 v[1:2], v3
	v_add_co_u32 v1, s3, 0x400, v1
	v_add_co_ci_u32_e64 v2, s3, 0, v2, s3
	v_cmp_le_i32_e32 vcc_lo, s30, v4
	s_or_b32 s7, vcc_lo, s7
	s_delay_alu instid0(SALU_CYCLE_1)
	s_and_not1_b32 exec_lo, exec_lo, s7
	s_cbranch_execnz .LBB2_7
.LBB2_8:
	s_or_b32 exec_lo, exec_lo, s6
	s_load_b256 s[20:27], s[0:1], 0x48
	s_mov_b32 s9, 0
	v_mov_b32_e32 v5, 0
	s_mov_b32 s31, s9
	s_waitcnt lgkmcnt(0)
	s_mul_i32 s3, s52, s21
	s_mul_hi_u32 s6, s52, s20
	s_mul_i32 s7, s53, s20
	s_add_i32 s3, s6, s3
	s_mul_i32 s6, s52, s20
	s_add_i32 s7, s3, s7
	s_delay_alu instid0(SALU_CYCLE_1) | instskip(NEXT) | instid1(SALU_CYCLE_1)
	s_lshl_b64 s[6:7], s[6:7], 2
	s_add_u32 s33, s50, s6
	s_addc_u32 s100, s51, s7
	s_lshl_b64 s[6:7], s[30:31], 2
	s_delay_alu instid0(SALU_CYCLE_1)
	s_add_u32 s6, s33, s6
	s_addc_u32 s7, s100, s7
	v_writelane_b32 v61, s6, 2
	global_load_b32 v3, v5, s[6:7] offset:-4
	v_writelane_b32 v61, s7, 3
	s_waitcnt vmcnt(0)
	v_cmp_gt_i32_e32 vcc_lo, 1, v3
	s_cbranch_vccnz .LBB2_256
; %bb.9:
	v_div_scale_f64 v[1:2], null, s[18:19], s[18:19], 1.0
	v_div_scale_f64 v[10:11], vcc_lo, 1.0, s[18:19], 1.0
	s_mul_hi_u32 s7, s52, s38
	s_mul_i32 s21, s53, s38
	s_mul_i32 s6, s52, s38
	s_load_b32 s38, s[0:1], 0x0
	s_mul_i32 s3, s52, s39
	s_mul_i32 s29, s52, s43
	s_add_i32 s3, s7, s3
	s_mul_hi_u32 s43, s52, s42
	s_add_i32 s7, s3, s21
	s_mul_i32 s44, s53, s42
	s_lshl_b64 s[6:7], s[6:7], 3
	s_mul_i32 s20, s52, s42
	s_mul_i32 s45, s52, s49
	s_mul_hi_u32 s49, s52, s48
	s_mul_i32 s50, s53, s48
	s_mul_i32 s28, s52, s48
	;; [unrolled: 1-line block ×3, first 2 shown]
	s_mul_hi_u32 s51, s52, s24
	s_mul_i32 s54, s53, s24
	s_mul_i32 s42, s52, s24
	s_load_b64 s[24:25], s[0:1], 0x68
	s_mul_i32 s5, s52, s5
	s_mul_hi_u32 s55, s52, s4
	s_waitcnt lgkmcnt(0)
	s_ashr_i32 s39, s38, 31
	s_add_u32 s31, s36, s6
	s_addc_u32 s101, s37, s7
	s_add_i32 s6, s43, s29
	s_mul_i32 s53, s53, s4
	s_add_i32 s21, s6, s44
	s_mul_i32 s44, s38, 5
	s_lshl_b64 s[6:7], s[20:21], 3
	s_mul_hi_i32 s21, s38, s52
	s_add_u32 s102, s40, s6
	s_addc_u32 s103, s41, s7
	s_delay_alu instid0(VALU_DEP_2)
	v_rcp_f64_e32 v[6:7], v[1:2]
	s_add_i32 s6, s49, s45
	s_mul_i32 s20, s38, s52
	s_add_i32 s29, s6, s50
	s_mul_i32 s4, s52, s4
	s_lshl_b64 s[6:7], s[28:29], 3
	s_mov_b32 s28, s24
	s_add_u32 s104, s46, s6
	s_addc_u32 vcc_hi, s47, s7
	s_add_i32 s6, s51, s48
	s_mul_hi_i32 s7, s44, s52
	s_add_i32 s43, s6, s54
	s_mul_i32 s6, s44, s52
	s_lshl_b64 s[36:37], s[42:43], 2
	s_mul_i32 s50, s38, 3
	s_add_u32 s73, s22, s36
	s_addc_u32 s54, s23, s37
	s_lshl_b64 s[48:49], s[6:7], 3
	v_dual_mov_b32 v51, 1 :: v_dual_lshlrev_b32 v4, 3, v0
	s_add_u32 s22, s12, s48
	s_addc_u32 s23, s13, s49
	s_lshl_b64 s[20:21], s[20:21], 2
	s_mul_i32 s37, s38, 0xffffffe8
	s_add_u32 s14, s14, s20
	s_addc_u32 s15, s15, s21
	s_add_i32 s5, s55, s5
	s_ashr_i32 s29, s24, 31
	s_add_i32 s5, s5, s53
	s_mul_hi_i32 s36, s38, 0xffffffe8
	s_lshl_b64 s[4:5], s[4:5], 3
	v_dual_mov_b32 v52, 0x3ff00000 :: v_dual_add_nc_u32 v49, 8, v4
	s_add_u32 s24, s26, s4
	s_addc_u32 s5, s27, s5
	s_lshl_b64 s[20:21], s[28:29], 3
	v_cmp_gt_u32_e64 s0, 0x80, v0
	s_add_u32 s24, s24, s20
	s_addc_u32 s60, s5, s21
	s_ashr_i32 s51, s50, 31
	s_waitcnt_depctr 0xfff
	v_fma_f64 v[8:9], -v[1:2], v[6:7], 1.0
	s_lshl_b64 s[20:21], s[50:51], 3
	v_add3_u32 v48, 8, 0x1000, v47
	s_add_u32 s26, s22, s20
	s_addc_u32 s27, s23, s21
	s_lshl_b64 s[28:29], s[38:39], 4
	v_cmp_gt_u32_e64 s1, 64, v0
	s_sub_u32 s40, s26, s28
	s_subb_u32 s41, s27, s29
	s_lshl_b64 s[52:53], s[38:39], 3
	v_cmp_gt_u32_e64 s3, 32, v0
	s_add_u32 s42, s40, s52
	s_addc_u32 s43, s41, s53
	s_add_u32 s44, s42, s28
	s_addc_u32 s45, s43, s29
	v_sub_nc_u32_e32 v50, v49, v47
	v_cmp_gt_i32_e64 s4, s38, v0
	s_mov_b32 s64, 0xff800000
	s_mov_b32 s65, 0x41dfffff
	;; [unrolled: 1-line block ×3, first 2 shown]
                                        ; implicit-def: $vgpr21_vgpr22
                                        ; implicit-def: $vgpr23_vgpr24
                                        ; implicit-def: $sgpr63
                                        ; implicit-def: $vgpr19_vgpr20
	v_mov_b32_e32 v53, 8
	v_fma_f64 v[6:7], v[6:7], v[8:9], v[6:7]
	s_delay_alu instid0(VALU_DEP_1) | instskip(NEXT) | instid1(VALU_DEP_1)
	v_fma_f64 v[8:9], -v[1:2], v[6:7], 1.0
	v_fma_f64 v[12:13], v[6:7], v[8:9], v[6:7]
	v_add_nc_u32_e32 v8, s38, v0
	v_max_f64 v[6:7], s[16:17], s[16:17]
	s_delay_alu instid0(VALU_DEP_2) | instskip(NEXT) | instid1(VALU_DEP_1)
	v_ashrrev_i32_e32 v9, 31, v8
	v_lshlrev_b64 v[16:17], 3, v[8:9]
	v_add_co_u32 v9, s5, s22, v4
	v_mul_f64 v[14:15], v[10:11], v[12:13]
	v_max_f64 v[7:8], v[6:7], 0
	s_delay_alu instid0(VALU_DEP_2)
	v_fma_f64 v[1:2], -v[1:2], v[14:15], v[10:11]
	v_add_co_ci_u32_e64 v10, null, s23, 0, s5
	s_add_u32 s5, s44, s37
	s_addc_u32 s36, s45, s36
	s_add_u32 s46, s5, 8
	s_addc_u32 s47, s36, 0
	s_and_b32 s61, s2, s8
	s_add_u32 s5, s73, -4
	s_delay_alu instid0(SALU_CYCLE_1)
	v_writelane_b32 v61, s5, 4
	s_addc_u32 s5, s54, -1
	s_add_u32 s78, s31, -8
	s_addc_u32 s79, s101, -1
	v_writelane_b32 v61, s54, 5
	v_writelane_b32 v61, s5, 6
	s_add_u32 s5, s102, -16
	s_delay_alu instid0(SALU_CYCLE_1)
	v_writelane_b32 v61, s5, 7
	s_addc_u32 s5, s103, -1
	s_add_u32 s36, s22, -8
	s_addc_u32 s37, s23, -1
	v_writelane_b32 v61, s5, 8
	s_add_u32 s5, s102, 8
	s_delay_alu instid0(SALU_CYCLE_1)
	v_writelane_b32 v61, s5, 9
	s_addc_u32 s5, s103, 0
	v_div_fmas_f64 v[1:2], v[1:2], v[12:13], v[14:15]
	v_add_co_u32 v6, vcc_lo, s22, v16
	v_writelane_b32 v61, s5, 10
	s_add_u32 s5, s31, 8
	v_add_co_ci_u32_e32 v16, vcc_lo, s23, v17, vcc_lo
	s_delay_alu instid0(VALU_DEP_3) | instskip(SKIP_2) | instid1(VALU_DEP_3)
	v_add_co_u32 v15, vcc_lo, v6, 8
	v_writelane_b32 v61, s5, 11
	s_addc_u32 s5, s101, 0
	v_add_co_ci_u32_e32 v16, vcc_lo, 0, v16, vcc_lo
                                        ; implicit-def: $vgpr17_vgpr18
	v_writelane_b32 v61, s5, 12
	s_add_u32 s5, s48, s20
	s_addc_u32 s8, s49, s21
	s_add_u32 s56, s5, s12
	s_addc_u32 s57, s8, s13
	s_lshl_b32 s62, s38, 1
	s_sub_u32 s48, s5, s28
	s_subb_u32 s49, s8, s29
	s_add_u32 s6, s6, s50
	v_writelane_b32 v61, s50, 13
	v_add_co_u32 v11, s20, s56, v4
	s_addc_u32 s7, s7, s51
	v_add_co_ci_u32_e64 v12, null, s57, 0, s20
	s_add_u32 s20, s6, s38
	s_addc_u32 s21, s7, s39
	v_writelane_b32 v61, s51, 14
	s_lshl_b64 s[6:7], s[6:7], 3
	s_lshl_b64 s[50:51], s[20:21], 3
	s_sub_u32 s52, s6, s52
	s_subb_u32 s53, s7, s53
	s_add_u32 s54, s5, 8
	s_addc_u32 s55, s8, 0
	v_div_fixup_f64 v[13:14], v[1:2], s[18:19], 1.0
	v_writelane_b32 v61, s73, 15
	s_add_u32 s56, s56, 16
	s_addc_u32 s57, s57, 0
	s_sub_u32 s5, s6, s28
	s_subb_u32 s6, s7, s29
	s_add_u32 s5, s5, s12
	v_writelane_b32 v61, s78, 16
	s_addc_u32 s6, s6, s13
	s_add_u32 s58, s5, 16
	s_addc_u32 s59, s6, 0
	s_mov_b32 s39, 0
	v_writelane_b32 v61, s79, 17
	s_branch .LBB2_12
.LBB2_10:                               ;   in Loop: Header=BB2_12 Depth=1
	v_readlane_b32 s20, v61, 2
	v_readlane_b32 s21, v61, 3
	;; [unrolled: 1-line block ×5, first 2 shown]
	s_mov_b32 s39, s7
	global_load_b32 v3, v5, s[20:21] offset:-4
.LBB2_11:                               ;   in Loop: Header=BB2_12 Depth=1
	s_add_i32 s66, s66, 1
	s_waitcnt vmcnt(0)
	v_cmp_ge_i32_e32 vcc_lo, s66, v3
	s_cbranch_vccnz .LBB2_256
.LBB2_12:                               ; =>This Loop Header: Depth=1
                                        ;     Child Loop BB2_17 Depth 2
                                        ;     Child Loop BB2_22 Depth 2
                                        ;       Child Loop BB2_35 Depth 3
                                        ;       Child Loop BB2_38 Depth 3
	;; [unrolled: 1-line block ×4, first 2 shown]
                                        ;         Child Loop BB2_71 Depth 4
                                        ;         Child Loop BB2_110 Depth 4
	;; [unrolled: 1-line block ×5, first 2 shown]
                                        ;           Child Loop BB2_130 Depth 5
                                        ;         Child Loop BB2_143 Depth 4
                                        ;           Child Loop BB2_144 Depth 5
                                        ;           Child Loop BB2_146 Depth 5
                                        ;         Child Loop BB2_151 Depth 4
                                        ;       Child Loop BB2_194 Depth 3
                                        ;       Child Loop BB2_233 Depth 3
	;; [unrolled: 1-line block ×4, first 2 shown]
	s_mov_b32 s68, 0
	s_cmp_eq_u32 s66, 0
	s_mov_b64 s[6:7], 0
	s_cbranch_scc1 .LBB2_14
; %bb.13:                               ;   in Loop: Header=BB2_12 Depth=1
	v_readlane_b32 s5, v61, 4
	s_mov_b32 s67, s9
	s_delay_alu instid0(SALU_CYCLE_1)
	s_lshl_b64 s[6:7], s[66:67], 2
	s_delay_alu instid0(VALU_DEP_1) | instid1(SALU_CYCLE_1)
	s_add_u32 s6, s5, s6
	v_readlane_b32 s5, v61, 6
	s_delay_alu instid0(VALU_DEP_1)
	s_addc_u32 s7, s5, s7
	global_load_b32 v1, v5, s[6:7]
	s_mov_b64 s[6:7], s[66:67]
	s_waitcnt vmcnt(0)
	v_readfirstlane_b32 s68, v1
.LBB2_14:                               ;   in Loop: Header=BB2_12 Depth=1
	v_readlane_b32 s5, v61, 5
	s_lshl_b64 s[6:7], s[6:7], 2
	s_delay_alu instid0(SALU_CYCLE_1) | instskip(NEXT) | instid1(VALU_DEP_1)
	s_add_u32 s6, s73, s6
	s_addc_u32 s7, s5, s7
	s_not_b32 s5, s68
	global_load_b32 v1, v5, s[6:7]
	s_waitcnt vmcnt(0)
	v_readfirstlane_b32 s70, v1
	v_subrev_nc_u32_e32 v54, s68, v1
	s_delay_alu instid0(VALU_DEP_2) | instskip(NEXT) | instid1(SALU_CYCLE_1)
	s_add_i32 s72, s5, s70
	s_cmp_lt_i32 s72, 1
	s_cselect_b32 s67, -1, 0
	s_delay_alu instid0(SALU_CYCLE_1)
	s_and_b32 vcc_lo, exec_lo, s67
	s_cbranch_vccnz .LBB2_19
; %bb.15:                               ;   in Loop: Header=BB2_12 Depth=1
	s_ashr_i32 s69, s68, 31
	v_readlane_b32 s8, v61, 7
	s_lshl_b64 s[74:75], s[68:69], 3
	s_delay_alu instid0(SALU_CYCLE_1) | instskip(SKIP_4) | instid1(SALU_CYCLE_1)
	s_add_u32 s6, s31, s74
	s_addc_u32 s7, s101, s75
	s_add_u32 s20, s102, s74
	s_addc_u32 s21, s103, s75
	s_ashr_i32 s71, s70, 31
	s_lshl_b64 s[28:29], s[70:71], 3
	s_delay_alu instid0(SALU_CYCLE_1) | instskip(SKIP_4) | instid1(VALU_DEP_1)
	s_add_u32 s76, s78, s28
	s_addc_u32 s77, s79, s29
	s_add_i32 s5, s70, -2
	s_add_u32 s28, s8, s28
	v_readlane_b32 s8, v61, 8
	s_addc_u32 s29, s8, s29
	s_clause 0x3
	global_load_b64 v[19:20], v5, s[6:7]
	global_load_b64 v[1:2], v5, s[20:21]
	;; [unrolled: 1-line block ×4, first 2 shown]
	s_cmp_ge_i32 s68, s5
	s_waitcnt vmcnt(2)
	v_add_f64 v[19:20], |v[19:20]|, |v[1:2]|
	s_waitcnt vmcnt(0)
	v_add_f64 v[21:22], |v[21:22]|, |v[23:24]|
	s_delay_alu instid0(VALU_DEP_1)
	v_cmp_lt_f64_e32 vcc_lo, v[19:20], v[21:22]
	v_dual_cndmask_b32 v20, v20, v22 :: v_dual_cndmask_b32 v19, v19, v21
	s_cbranch_scc1 .LBB2_18
; %bb.16:                               ;   in Loop: Header=BB2_12 Depth=1
	v_readlane_b32 s6, v61, 9
	v_readlane_b32 s7, v61, 10
	;; [unrolled: 1-line block ×3, first 2 shown]
	s_delay_alu instid0(VALU_DEP_3) | instskip(NEXT) | instid1(VALU_DEP_2)
	s_add_u32 s6, s6, s74
	s_addc_u32 s7, s7, s75
	s_delay_alu instid0(VALU_DEP_1) | instskip(SKIP_1) | instid1(VALU_DEP_1)
	s_add_u32 s74, s8, s74
	v_readlane_b32 s8, v61, 12
	s_addc_u32 s75, s8, s75
	s_mov_b32 s8, s68
	.p2align	6
.LBB2_17:                               ;   Parent Loop BB2_12 Depth=1
                                        ; =>  This Inner Loop Header: Depth=2
	global_load_b64 v[21:22], v5, s[74:75]
	s_add_i32 s8, s8, 1
	s_waitcnt vmcnt(0)
	v_add_f64 v[21:22], |v[1:2]|, |v[21:22]|
	global_load_b64 v[1:2], v5, s[6:7]
	s_add_u32 s6, s6, 8
	s_addc_u32 s7, s7, 0
	s_add_u32 s74, s74, 8
	s_addc_u32 s75, s75, 0
	s_cmp_lt_i32 s8, s5
	s_waitcnt vmcnt(0)
	v_add_f64 v[21:22], v[21:22], |v[1:2]|
	s_delay_alu instid0(VALU_DEP_1)
	v_cmp_lt_f64_e32 vcc_lo, v[19:20], v[21:22]
	v_dual_cndmask_b32 v20, v20, v22 :: v_dual_cndmask_b32 v19, v19, v21
	s_cbranch_scc1 .LBB2_17
.LBB2_18:                               ;   in Loop: Header=BB2_12 Depth=1
	v_cvt_f64_u32_e32 v[1:2], v54
	s_mov_b32 s6, 0x9999999a
	s_mov_b32 s7, 0x3fb99999
	;; [unrolled: 1-line block ×3, first 2 shown]
	s_delay_alu instid0(VALU_DEP_1) | instskip(SKIP_1) | instid1(VALU_DEP_2)
	v_div_scale_f64 v[21:22], null, v[1:2], v[1:2], s[6:7]
	v_div_scale_f64 v[27:28], vcc_lo, s[6:7], v[1:2], s[6:7]
	v_rcp_f64_e32 v[23:24], v[21:22]
	s_waitcnt_depctr 0xfff
	v_fma_f64 v[25:26], -v[21:22], v[23:24], 1.0
	s_delay_alu instid0(VALU_DEP_1) | instskip(NEXT) | instid1(VALU_DEP_1)
	v_fma_f64 v[23:24], v[23:24], v[25:26], v[23:24]
	v_fma_f64 v[25:26], -v[21:22], v[23:24], 1.0
	s_delay_alu instid0(VALU_DEP_1) | instskip(NEXT) | instid1(VALU_DEP_1)
	v_fma_f64 v[23:24], v[23:24], v[25:26], v[23:24]
	v_mul_f64 v[25:26], v[27:28], v[23:24]
	s_delay_alu instid0(VALU_DEP_1) | instskip(NEXT) | instid1(VALU_DEP_1)
	v_fma_f64 v[21:22], -v[21:22], v[25:26], v[27:28]
	v_div_fmas_f64 v[21:22], v[21:22], v[23:24], v[25:26]
	s_delay_alu instid0(VALU_DEP_1) | instskip(SKIP_2) | instid1(VALU_DEP_1)
	v_div_fixup_f64 v[1:2], v[21:22], v[1:2], s[6:7]
	s_mov_b32 s6, 0xd2f1a9fc
	s_mov_b32 s7, 0x3f50624d
	v_cmp_gt_f64_e32 vcc_lo, 0x10000000, v[1:2]
	v_cndmask_b32_e64 v4, 0, 1, vcc_lo
	s_and_b32 s5, vcc_lo, exec_lo
	s_cselect_b32 s5, 0xffffff80, 0
	s_delay_alu instid0(VALU_DEP_1) | instskip(NEXT) | instid1(VALU_DEP_1)
	v_lshlrev_b32_e32 v4, 8, v4
	v_ldexp_f64 v[1:2], v[1:2], v4
	s_delay_alu instid0(VALU_DEP_1) | instskip(SKIP_4) | instid1(VALU_DEP_1)
	v_rsq_f64_e32 v[21:22], v[1:2]
	v_cmp_class_f64_e64 vcc_lo, v[1:2], 0x260
	s_waitcnt_depctr 0xfff
	v_mul_f64 v[23:24], v[1:2], v[21:22]
	v_mul_f64 v[21:22], v[21:22], 0.5
	v_fma_f64 v[25:26], -v[21:22], v[23:24], 0.5
	s_delay_alu instid0(VALU_DEP_1) | instskip(SKIP_1) | instid1(VALU_DEP_2)
	v_fma_f64 v[23:24], v[23:24], v[25:26], v[23:24]
	v_fma_f64 v[21:22], v[21:22], v[25:26], v[21:22]
	v_fma_f64 v[25:26], -v[23:24], v[23:24], v[1:2]
	s_delay_alu instid0(VALU_DEP_1) | instskip(NEXT) | instid1(VALU_DEP_1)
	v_fma_f64 v[23:24], v[25:26], v[21:22], v[23:24]
	v_fma_f64 v[25:26], -v[23:24], v[23:24], v[1:2]
	s_delay_alu instid0(VALU_DEP_1) | instskip(SKIP_1) | instid1(VALU_DEP_2)
	v_fma_f64 v[21:22], v[25:26], v[21:22], v[23:24]
	v_mul_f64 v[23:24], v[19:20], s[6:7]
	v_ldexp_f64 v[21:22], v[21:22], s5
	s_delay_alu instid0(VALU_DEP_1)
	v_dual_cndmask_b32 v21, v21, v1 :: v_dual_cndmask_b32 v22, v22, v2
.LBB2_19:                               ;   in Loop: Header=BB2_12 Depth=1
	s_cmp_ge_i32 s39, s30
	s_cbranch_scc1 .LBB2_11
; %bb.20:                               ;   in Loop: Header=BB2_12 Depth=1
	v_add_nc_u32_e32 v1, s68, v0
	s_ashr_i32 s71, s70, 31
	s_mov_b32 s73, s9
	s_lshl_b64 s[6:7], s[70:71], 3
	v_cmp_ge_i32_e64 s5, s72, v0
	v_ashrrev_i32_e32 v2, 31, v1
	s_add_u32 s74, s78, s6
	s_addc_u32 s75, s79, s7
	v_readlane_b32 s6, v61, 13
	v_readlane_b32 s7, v61, 14
	v_lshlrev_b64 v[1:2], 3, v[1:2]
	s_mul_i32 s71, s66, s30
	s_mov_b32 s82, s39
	s_add_i32 s6, s72, s6
	s_delay_alu instid0(SALU_CYCLE_1) | instskip(NEXT) | instid1(VALU_DEP_1)
	s_ashr_i32 s7, s6, 31
	v_add_co_u32 v25, vcc_lo, s31, v1
	v_add_co_ci_u32_e32 v26, vcc_lo, s101, v2, vcc_lo
	v_add_co_u32 v27, vcc_lo, s102, v1
	v_add_co_ci_u32_e32 v28, vcc_lo, s103, v2, vcc_lo
	v_cvt_f64_u32_e32 v[1:2], v54
	s_lshl_b64 s[6:7], s[6:7], 3
	s_delay_alu instid0(SALU_CYCLE_1) | instskip(SKIP_2) | instid1(SALU_CYCLE_1)
	s_add_u32 s76, s22, s6
	s_addc_u32 s77, s23, s7
	s_lshl_b64 s[6:7], s[72:73], 2
	s_add_u32 s78, s14, s6
	s_addc_u32 s79, s15, s7
	s_lshl_b64 s[6:7], s[72:73], 3
	s_add_i32 s73, s72, -1
	s_add_u32 s80, s26, s6
	s_addc_u32 s81, s27, s7
	s_cmp_lg_u32 s72, 1
	v_cmp_gt_i32_e64 s6, s72, v0
	s_cselect_b32 s28, -1, 0
	s_ashr_i32 s69, s68, 31
	s_sub_i32 s29, s70, s68
	s_lshl_b64 s[20:21], s[68:69], 3
	s_mul_i32 s69, s25, s39
	v_sub_co_u32 v31, vcc_lo, v9, s20
	v_subrev_co_ci_u32_e32 v32, vcc_lo, s21, v10, vcc_lo
	s_mov_b32 s20, 0
	s_delay_alu instid0(VALU_DEP_4)
	v_mul_f64 v[29:30], v[19:20], v[1:2]
	v_dual_mov_b32 v1, v17 :: v_dual_mov_b32 v2, v18
	s_branch .LBB2_22
.LBB2_21:                               ;   in Loop: Header=BB2_22 Depth=2
	s_set_inst_prefetch_distance 0x2
	s_or_b32 exec_lo, exec_lo, s21
	s_add_i32 s82, s82, 1
	s_add_i32 s20, s20, 1
	;; [unrolled: 1-line block ×3, first 2 shown]
	v_dual_mov_b32 v1, v17 :: v_dual_mov_b32 v2, v18
	s_cmp_ge_i32 s82, s30
	s_mov_b32 s7, s39
	s_cselect_b32 s8, -1, 0
	s_waitcnt_vscnt null, 0x0
	s_barrier
	buffer_gl0_inv
	s_and_b32 vcc_lo, exec_lo, s8
	s_cbranch_vccnz .LBB2_10
.LBB2_22:                               ;   Parent Loop BB2_12 Depth=1
                                        ; =>  This Loop Header: Depth=2
                                        ;       Child Loop BB2_35 Depth 3
                                        ;       Child Loop BB2_38 Depth 3
                                        ;       Child Loop BB2_44 Depth 3
                                        ;       Child Loop BB2_69 Depth 3
                                        ;         Child Loop BB2_71 Depth 4
                                        ;         Child Loop BB2_110 Depth 4
	;; [unrolled: 1-line block ×5, first 2 shown]
                                        ;           Child Loop BB2_130 Depth 5
                                        ;         Child Loop BB2_143 Depth 4
                                        ;           Child Loop BB2_144 Depth 5
                                        ;           Child Loop BB2_146 Depth 5
                                        ;         Child Loop BB2_151 Depth 4
                                        ;       Child Loop BB2_194 Depth 3
                                        ;       Child Loop BB2_233 Depth 3
	;; [unrolled: 1-line block ×4, first 2 shown]
	s_ashr_i32 s83, s82, 31
	s_delay_alu instid0(SALU_CYCLE_1) | instskip(NEXT) | instid1(SALU_CYCLE_1)
	s_lshl_b64 s[84:85], s[82:83], 2
	s_add_u32 s84, s33, s84
	s_addc_u32 s85, s100, s85
	global_load_b32 v3, v5, s[84:85]
	s_waitcnt vmcnt(0)
	v_add_nc_u32_e32 v3, -1, v3
	s_delay_alu instid0(VALU_DEP_1)
	v_cmp_ne_u32_e32 vcc_lo, s66, v3
	s_cbranch_vccnz .LBB2_27
; %bb.23:                               ;   in Loop: Header=BB2_22 Depth=2
	s_lshl_b64 s[84:85], s[82:83], 3
	s_delay_alu instid0(SALU_CYCLE_1)
	s_add_u32 s84, s104, s84
	s_addc_u32 s85, vcc_hi, s85
	s_and_b32 vcc_lo, exec_lo, s67
	global_load_b64 v[17:18], v5, s[84:85]
	s_cbranch_vccz .LBB2_28
; %bb.24:                               ;   in Loop: Header=BB2_22 Depth=2
	s_and_saveexec_b32 s7, s2
	s_cbranch_execz .LBB2_26
; %bb.25:                               ;   in Loop: Header=BB2_22 Depth=2
	v_mov_b32_e32 v6, v52
	global_store_b64 v5, v[5:6], s[22:23]
.LBB2_26:                               ;   in Loop: Header=BB2_22 Depth=2
	s_or_b32 exec_lo, exec_lo, s7
	s_waitcnt vmcnt(0)
	s_waitcnt_vscnt null, 0x0
	s_barrier
	s_branch .LBB2_251
.LBB2_27:                               ;   in Loop: Header=BB2_22 Depth=2
	v_dual_mov_b32 v18, v2 :: v_dual_mov_b32 v17, v1
	s_mov_b32 s7, s82
                                        ; implicit-def: $sgpr20
                                        ; implicit-def: $sgpr69
	s_cbranch_execz .LBB2_22
	s_branch .LBB2_10
.LBB2_28:                               ;   in Loop: Header=BB2_22 Depth=2
	s_cbranch_execz .LBB2_251
; %bb.29:                               ;   in Loop: Header=BB2_22 Depth=2
	s_cmp_lg_u32 s20, 0
	s_cselect_b32 s83, -1, 0
	s_cmp_eq_u32 s20, 0
	s_cbranch_scc1 .LBB2_31
; %bb.30:                               ;   in Loop: Header=BB2_22 Depth=2
	s_waitcnt vmcnt(0)
	v_mul_f64 v[3:4], v[17:18], s[16:17]
	v_add_f64 v[33:34], v[17:18], -v[1:2]
	s_delay_alu instid0(VALU_DEP_2) | instskip(SKIP_1) | instid1(VALU_DEP_2)
	v_mul_f64 v[35:36], 0x40240000, |v[3:4]|
	v_fma_f64 v[3:4], 0x40240000, |v[3:4]|, v[1:2]
	v_cmp_lt_f64_e32 vcc_lo, v[33:34], v[35:36]
	s_delay_alu instid0(VALU_DEP_2)
	v_dual_cndmask_b32 v18, v18, v4 :: v_dual_cndmask_b32 v17, v17, v3
.LBB2_31:                               ;   in Loop: Header=BB2_22 Depth=2
	s_add_i32 s7, s82, s71
	s_delay_alu instid0(SALU_CYCLE_1) | instskip(SKIP_1) | instid1(VALU_DEP_1)
	v_lshl_or_b32 v3, s7, 8, v0
	s_mov_b32 s7, exec_lo
	v_add_nc_u32_e32 v4, 1, v3
	s_delay_alu instid0(VALU_DEP_1) | instskip(NEXT) | instid1(VALU_DEP_1)
	v_mul_hi_i32 v6, 0x40000001, v4
	v_lshrrev_b32_e32 v33, 31, v6
	v_ashrrev_i32_e32 v6, 29, v6
	s_delay_alu instid0(VALU_DEP_1) | instskip(NEXT) | instid1(VALU_DEP_1)
	v_add_nc_u32_e32 v6, v6, v33
	v_mul_lo_u32 v6, 0x7fffffff, v6
	s_delay_alu instid0(VALU_DEP_1) | instskip(NEXT) | instid1(VALU_DEP_1)
	v_sub_nc_u32_e32 v4, v4, v6
	v_max_i32_e32 v6, 1, v4
	s_delay_alu instid0(VALU_DEP_1)
	v_mov_b32_e32 v33, v6
	v_cmpx_ne_u32_e32 0x7ffffffe, v3
; %bb.32:                               ;   in Loop: Header=BB2_22 Depth=2
	v_sub_nc_u32_e32 v3, 0x7ffffffe, v3
	s_delay_alu instid0(VALU_DEP_1) | instskip(NEXT) | instid1(VALU_DEP_1)
	v_mul_hi_i32 v4, 0x4000007d, v3
	v_lshrrev_b32_e32 v33, 31, v4
	v_ashrrev_i32_e32 v4, 29, v4
	s_delay_alu instid0(VALU_DEP_1) | instskip(NEXT) | instid1(VALU_DEP_1)
	v_add_nc_u32_e32 v4, v4, v33
	v_mul_lo_u32 v4, 0x7fffff07, v4
	s_delay_alu instid0(VALU_DEP_1) | instskip(NEXT) | instid1(VALU_DEP_1)
	v_sub_nc_u32_e32 v3, v3, v4
	v_max_i32_e32 v33, 1, v3
; %bb.33:                               ;   in Loop: Header=BB2_22 Depth=2
	s_or_b32 exec_lo, exec_lo, s7
	s_and_saveexec_b32 s8, s5
	s_cbranch_execz .LBB2_36
; %bb.34:                               ;   in Loop: Header=BB2_22 Depth=2
	v_dual_mov_b32 v3, v9 :: v_dual_mov_b32 v4, v10
	v_mov_b32_e32 v34, v0
	s_mov_b32 s21, 0
.LBB2_35:                               ;   Parent Loop BB2_12 Depth=1
                                        ;     Parent Loop BB2_22 Depth=2
                                        ; =>    This Inner Loop Header: Depth=3
	v_mul_hi_i32 v35, 0x5e4789c9, v6
	v_mul_hi_i32 v36, 0x4f7a09cd, v33
	s_delay_alu instid0(VALU_DEP_3) | instskip(NEXT) | instid1(VALU_DEP_3)
	v_add_nc_u32_e32 v34, 0x100, v34
	v_lshrrev_b32_e32 v37, 31, v35
	v_ashrrev_i32_e32 v35, 14, v35
	s_delay_alu instid0(VALU_DEP_4) | instskip(SKIP_1) | instid1(VALU_DEP_3)
	v_lshrrev_b32_e32 v38, 31, v36
	v_ashrrev_i32_e32 v36, 14, v36
	v_add_nc_u32_e32 v35, v35, v37
	s_delay_alu instid0(VALU_DEP_2) | instskip(NEXT) | instid1(VALU_DEP_2)
	v_add_nc_u32_e32 v36, v36, v38
	v_mul_i32_i24_e32 v37, 0xadc8, v35
	s_delay_alu instid0(VALU_DEP_2) | instskip(NEXT) | instid1(VALU_DEP_2)
	v_mul_i32_i24_e32 v38, 0xce26, v36
	v_sub_nc_u32_e32 v6, v6, v37
	s_delay_alu instid0(VALU_DEP_2) | instskip(NEXT) | instid1(VALU_DEP_2)
	v_sub_nc_u32_e32 v33, v33, v38
	v_mul_lo_u32 v6, 0xbc8f, v6
	s_delay_alu instid0(VALU_DEP_2) | instskip(NEXT) | instid1(VALU_DEP_2)
	v_mul_lo_u32 v33, 0x9ef4, v33
	v_mad_i32_i24 v6, 0xfffff2b9, v35, v6
	s_delay_alu instid0(VALU_DEP_2) | instskip(NEXT) | instid1(VALU_DEP_2)
	v_mad_i32_i24 v33, 0xfffff131, v36, v33
	v_ashrrev_i32_e32 v35, 31, v6
	s_delay_alu instid0(VALU_DEP_2) | instskip(NEXT) | instid1(VALU_DEP_2)
	v_ashrrev_i32_e32 v36, 31, v33
	v_and_b32_e32 v35, 0x7fffffff, v35
	s_delay_alu instid0(VALU_DEP_2) | instskip(NEXT) | instid1(VALU_DEP_2)
	v_and_b32_e32 v36, 0x7fffff07, v36
	v_add_nc_u32_e32 v6, v35, v6
	s_delay_alu instid0(VALU_DEP_2) | instskip(NEXT) | instid1(VALU_DEP_1)
	v_add_nc_u32_e32 v33, v36, v33
	v_sub_nc_u32_e32 v35, v6, v33
	s_delay_alu instid0(VALU_DEP_1) | instskip(NEXT) | instid1(VALU_DEP_1)
	v_ashrrev_i32_e32 v36, 31, v35
	v_and_b32_e32 v36, 0x7fffffff, v36
	s_delay_alu instid0(VALU_DEP_1) | instskip(NEXT) | instid1(VALU_DEP_1)
	v_add_nc_u32_e32 v35, v36, v35
	v_cvt_f64_i32_e32 v[35:36], v35
	s_delay_alu instid0(VALU_DEP_1) | instskip(NEXT) | instid1(VALU_DEP_1)
	v_div_scale_f64 v[37:38], null, s[64:65], s[64:65], v[35:36]
	v_rcp_f64_e32 v[39:40], v[37:38]
	s_waitcnt_depctr 0xfff
	v_fma_f64 v[41:42], -v[37:38], v[39:40], 1.0
	s_delay_alu instid0(VALU_DEP_1) | instskip(NEXT) | instid1(VALU_DEP_1)
	v_fma_f64 v[39:40], v[39:40], v[41:42], v[39:40]
	v_fma_f64 v[41:42], -v[37:38], v[39:40], 1.0
	s_delay_alu instid0(VALU_DEP_1) | instskip(SKIP_1) | instid1(VALU_DEP_1)
	v_fma_f64 v[39:40], v[39:40], v[41:42], v[39:40]
	v_div_scale_f64 v[41:42], vcc_lo, v[35:36], s[64:65], v[35:36]
	v_mul_f64 v[43:44], v[41:42], v[39:40]
	s_delay_alu instid0(VALU_DEP_1) | instskip(NEXT) | instid1(VALU_DEP_1)
	v_fma_f64 v[37:38], -v[37:38], v[43:44], v[41:42]
	v_div_fmas_f64 v[37:38], v[37:38], v[39:40], v[43:44]
	v_cmp_lt_i32_e32 vcc_lo, s72, v34
	s_or_b32 s21, vcc_lo, s21
	s_delay_alu instid0(VALU_DEP_2) | instskip(SKIP_2) | instid1(VALU_DEP_1)
	v_div_fixup_f64 v[35:36], v[37:38], s[64:65], v[35:36]
	global_store_b64 v[3:4], v[35:36], off
	v_add_co_u32 v3, s7, 0x800, v3
	v_add_co_ci_u32_e64 v4, s7, 0, v4, s7
	s_and_not1_b32 exec_lo, exec_lo, s21
	s_cbranch_execnz .LBB2_35
.LBB2_36:                               ;   in Loop: Header=BB2_22 Depth=2
	s_or_b32 exec_lo, exec_lo, s8
	s_and_saveexec_b32 s21, s6
	s_cbranch_execz .LBB2_39
; %bb.37:                               ;   in Loop: Header=BB2_22 Depth=2
	v_mov_b32_e32 v36, v16
	v_dual_mov_b32 v38, v12 :: v_dual_mov_b32 v37, v11
	v_dual_mov_b32 v3, v27 :: v_dual_mov_b32 v4, v28
	;; [unrolled: 1-line block ×4, first 2 shown]
	s_mov_b32 s84, 0
	s_set_inst_prefetch_distance 0x1
	.p2align	6
.LBB2_38:                               ;   Parent Loop BB2_12 Depth=1
                                        ;     Parent Loop BB2_22 Depth=2
                                        ; =>    This Inner Loop Header: Depth=3
	global_load_b64 v[41:42], v[33:34], off
	v_add_nc_u32_e32 v39, s62, v6
	v_add_nc_u32_e32 v6, 0x100, v6
	s_delay_alu instid0(VALU_DEP_2) | instskip(NEXT) | instid1(VALU_DEP_1)
	v_ashrrev_i32_e32 v40, 31, v39
	v_lshlrev_b64 v[39:40], 3, v[39:40]
	s_delay_alu instid0(VALU_DEP_1) | instskip(NEXT) | instid1(VALU_DEP_2)
	v_add_co_u32 v39, vcc_lo, s22, v39
	v_add_co_ci_u32_e32 v40, vcc_lo, s23, v40, vcc_lo
	v_add_co_u32 v33, vcc_lo, 0x800, v33
	v_add_co_ci_u32_e32 v34, vcc_lo, 0, v34, vcc_lo
	v_cmp_le_i32_e32 vcc_lo, s72, v6
	s_or_b32 s84, vcc_lo, s84
	s_waitcnt vmcnt(0)
	global_store_b64 v[37:38], v[41:42], off
	global_load_b64 v[41:42], v[3:4], off
	v_add_co_u32 v37, s7, 0x800, v37
	v_add_co_u32 v3, s8, 0x800, v3
	v_add_co_ci_u32_e64 v38, s7, 0, v38, s7
	v_add_co_ci_u32_e64 v4, s7, 0, v4, s8
	s_waitcnt vmcnt(0)
	global_store_b64 v[39:40], v[41:42], off
	global_store_b64 v[35:36], v[41:42], off
	v_add_co_u32 v35, s7, 0x800, v35
	s_delay_alu instid0(VALU_DEP_1)
	v_add_co_ci_u32_e64 v36, s7, 0, v36, s7
	s_and_not1_b32 exec_lo, exec_lo, s84
	s_cbranch_execnz .LBB2_38
.LBB2_39:                               ;   in Loop: Header=BB2_22 Depth=2
	s_set_inst_prefetch_distance 0x2
	s_or_b32 exec_lo, exec_lo, s21
	s_and_saveexec_b32 s7, s2
	s_cbranch_execz .LBB2_41
; %bb.40:                               ;   in Loop: Header=BB2_22 Depth=2
	global_load_b64 v[3:4], v5, s[74:75]
	s_waitcnt vmcnt(0)
	global_store_b64 v5, v[3:4], s[76:77]
.LBB2_41:                               ;   in Loop: Header=BB2_22 Depth=2
	s_or_b32 exec_lo, exec_lo, s7
	s_waitcnt vmcnt(0)
	s_waitcnt_vscnt null, 0x0
	s_barrier
	buffer_gl0_inv
	s_and_saveexec_b32 s7, s2
	s_cbranch_execz .LBB2_68
; %bb.42:                               ;   in Loop: Header=BB2_22 Depth=2
	global_load_b64 v[3:4], v5, s[26:27]
	s_mov_b32 s8, 1
	s_mov_b64 s[84:85], s[54:55]
	s_mov_b64 s[86:87], s[52:53]
	;; [unrolled: 1-line block ×5, first 2 shown]
	global_store_b32 v5, v5, s[78:79]
	s_waitcnt vmcnt(0)
	v_add_f64 v[3:4], v[3:4], -v[17:18]
	global_store_b64 v5, v[3:4], s[26:27]
	global_load_b64 v[33:34], v5, s[40:41] offset:8
	s_waitcnt vmcnt(0)
	v_add_f64 v[3:4], |v[3:4]|, |v[33:34]|
	s_branch .LBB2_44
.LBB2_43:                               ;   in Loop: Header=BB2_44 Depth=3
	s_add_u32 s92, s92, 8
	s_addc_u32 s93, s93, 0
	s_add_u32 s90, s90, 8
	s_addc_u32 s91, s91, 0
	;; [unrolled: 2-line block ×4, first 2 shown]
	s_add_i32 s8, s8, 1
	s_add_u32 s84, s84, 8
	s_addc_u32 s85, s85, 0
	s_cmp_eq_u32 s29, s8
	s_cbranch_scc1 .LBB2_65
.LBB2_44:                               ;   Parent Loop BB2_12 Depth=1
                                        ;     Parent Loop BB2_22 Depth=2
                                        ; =>    This Inner Loop Header: Depth=3
	s_add_i32 s98, s8, -1
	s_add_u32 s96, s12, s84
	s_addc_u32 s97, s13, s85
	s_add_u32 s94, s12, s86
	global_load_b64 v[33:34], v5, s[96:97]
	s_addc_u32 s95, s13, s87
	s_cmp_lt_i32 s98, s73
	s_cselect_b32 s21, -1, 0
	s_cmp_ge_i32 s98, s73
	s_waitcnt vmcnt(0)
	v_add_f64 v[37:38], v[33:34], -v[17:18]
	global_store_b64 v5, v[37:38], s[96:97]
	global_load_b64 v[39:40], v5, s[94:95]
	s_waitcnt vmcnt(0)
	v_add_f64 v[33:34], |v[37:38]|, |v[39:40]|
	s_cbranch_scc1 .LBB2_46
; %bb.45:                               ;   in Loop: Header=BB2_44 Depth=3
	s_add_u32 s98, s12, s92
	s_addc_u32 s99, s13, s93
	global_load_b64 v[35:36], v5, s[98:99] offset:16
	s_waitcnt vmcnt(0)
	v_add_f64 v[33:34], v[33:34], |v[35:36]|
.LBB2_46:                               ;   in Loop: Header=BB2_44 Depth=3
	global_load_b64 v[43:44], v5, s[96:97] offset:-8
	v_mov_b32_e32 v35, 0
	v_mov_b32_e32 v36, 0
	s_waitcnt vmcnt(0)
	v_cmp_eq_f64_e32 vcc_lo, 0, v[43:44]
	s_cbranch_vccnz .LBB2_48
; %bb.47:                               ;   in Loop: Header=BB2_44 Depth=3
	v_dual_mov_b32 v35, v43 :: v_dual_and_b32 v36, 0x7fffffff, v44
	s_delay_alu instid0(VALU_DEP_1) | instskip(SKIP_1) | instid1(VALU_DEP_2)
	v_div_scale_f64 v[41:42], null, v[3:4], v[3:4], v[35:36]
	v_div_scale_f64 v[35:36], vcc_lo, v[35:36], v[3:4], v[35:36]
	v_rcp_f64_e32 v[45:46], v[41:42]
	s_waitcnt_depctr 0xfff
	v_fma_f64 v[55:56], -v[41:42], v[45:46], 1.0
	s_delay_alu instid0(VALU_DEP_1) | instskip(NEXT) | instid1(VALU_DEP_1)
	v_fma_f64 v[45:46], v[45:46], v[55:56], v[45:46]
	v_fma_f64 v[55:56], -v[41:42], v[45:46], 1.0
	s_delay_alu instid0(VALU_DEP_1) | instskip(NEXT) | instid1(VALU_DEP_1)
	v_fma_f64 v[45:46], v[45:46], v[55:56], v[45:46]
	v_mul_f64 v[55:56], v[35:36], v[45:46]
	s_delay_alu instid0(VALU_DEP_1) | instskip(NEXT) | instid1(VALU_DEP_1)
	v_fma_f64 v[35:36], -v[41:42], v[55:56], v[35:36]
	v_div_fmas_f64 v[35:36], v[35:36], v[45:46], v[55:56]
	s_delay_alu instid0(VALU_DEP_1)
	v_div_fixup_f64 v[35:36], v[35:36], v[3:4], |v[43:44]|
.LBB2_48:                               ;   in Loop: Header=BB2_44 Depth=3
	v_cmp_neq_f64_e32 vcc_lo, 0, v[39:40]
	s_cbranch_vccz .LBB2_53
; %bb.49:                               ;   in Loop: Header=BB2_44 Depth=3
	v_dual_mov_b32 v41, v39 :: v_dual_and_b32 v42, 0x7fffffff, v40
	s_delay_alu instid0(VALU_DEP_1) | instskip(SKIP_1) | instid1(VALU_DEP_2)
	v_div_scale_f64 v[45:46], null, v[33:34], v[33:34], v[41:42]
	v_div_scale_f64 v[41:42], vcc_lo, v[41:42], v[33:34], v[41:42]
	v_rcp_f64_e32 v[55:56], v[45:46]
	s_waitcnt_depctr 0xfff
	v_fma_f64 v[57:58], -v[45:46], v[55:56], 1.0
	s_delay_alu instid0(VALU_DEP_1) | instskip(NEXT) | instid1(VALU_DEP_1)
	v_fma_f64 v[55:56], v[55:56], v[57:58], v[55:56]
	v_fma_f64 v[57:58], -v[45:46], v[55:56], 1.0
	s_delay_alu instid0(VALU_DEP_1) | instskip(NEXT) | instid1(VALU_DEP_1)
	v_fma_f64 v[55:56], v[55:56], v[57:58], v[55:56]
	v_mul_f64 v[57:58], v[41:42], v[55:56]
	s_delay_alu instid0(VALU_DEP_1) | instskip(NEXT) | instid1(VALU_DEP_1)
	v_fma_f64 v[41:42], -v[45:46], v[57:58], v[41:42]
	v_div_fmas_f64 v[41:42], v[41:42], v[55:56], v[57:58]
	s_delay_alu instid0(VALU_DEP_1) | instskip(NEXT) | instid1(VALU_DEP_1)
	v_div_fixup_f64 v[41:42], v[41:42], v[33:34], |v[39:40]|
	v_cmp_nle_f64_e32 vcc_lo, v[41:42], v[35:36]
	s_cbranch_vccnz .LBB2_54
; %bb.50:                               ;   in Loop: Header=BB2_44 Depth=3
	v_div_scale_f64 v[45:46], null, v[43:44], v[43:44], v[39:40]
	s_add_u32 s98, s12, s92
	s_addc_u32 s99, s13, s93
	s_delay_alu instid0(VALU_DEP_1) | instskip(SKIP_2) | instid1(VALU_DEP_1)
	v_rcp_f64_e32 v[55:56], v[45:46]
	s_waitcnt_depctr 0xfff
	v_fma_f64 v[57:58], -v[45:46], v[55:56], 1.0
	v_fma_f64 v[55:56], v[55:56], v[57:58], v[55:56]
	s_delay_alu instid0(VALU_DEP_1) | instskip(NEXT) | instid1(VALU_DEP_1)
	v_fma_f64 v[57:58], -v[45:46], v[55:56], 1.0
	v_fma_f64 v[55:56], v[55:56], v[57:58], v[55:56]
	v_div_scale_f64 v[57:58], vcc_lo, v[39:40], v[43:44], v[39:40]
	s_delay_alu instid0(VALU_DEP_1) | instskip(NEXT) | instid1(VALU_DEP_1)
	v_mul_f64 v[59:60], v[57:58], v[55:56]
	v_fma_f64 v[45:46], -v[45:46], v[59:60], v[57:58]
	s_delay_alu instid0(VALU_DEP_1) | instskip(SKIP_1) | instid1(VALU_DEP_1)
	v_div_fmas_f64 v[45:46], v[45:46], v[55:56], v[59:60]
	s_and_not1_b32 vcc_lo, exec_lo, s21
	v_div_fixup_f64 v[45:46], v[45:46], v[43:44], v[39:40]
	global_store_b64 v5, v[45:46], s[94:95]
	s_clause 0x1
	global_load_b64 v[55:56], v5, s[96:97]
	global_load_b64 v[57:58], v5, s[98:99] offset:8
	s_waitcnt vmcnt(0)
	v_fma_f64 v[45:46], -v[45:46], v[57:58], v[55:56]
	s_clause 0x1
	global_store_b32 v5, v5, s[88:89]
	global_store_b64 v5, v[45:46], s[96:97]
	s_cbranch_vccnz .LBB2_52
; %bb.51:                               ;   in Loop: Header=BB2_44 Depth=3
	v_mov_b32_e32 v6, v5
	s_add_u32 s98, s12, s90
	s_addc_u32 s99, s13, s91
	global_store_b64 v5, v[5:6], s[98:99]
.LBB2_52:                               ;   in Loop: Header=BB2_44 Depth=3
	v_dual_mov_b32 v46, v34 :: v_dual_mov_b32 v45, v33
	s_cbranch_execz .LBB2_55
	s_branch .LBB2_58
.LBB2_53:                               ;   in Loop: Header=BB2_44 Depth=3
                                        ; implicit-def: $vgpr41_vgpr42
                                        ; implicit-def: $vgpr3_vgpr4
	s_branch .LBB2_59
.LBB2_54:                               ;   in Loop: Header=BB2_44 Depth=3
	v_dual_mov_b32 v46, v34 :: v_dual_mov_b32 v45, v33
.LBB2_55:                               ;   in Loop: Header=BB2_44 Depth=3
	v_div_scale_f64 v[45:46], null, v[39:40], v[39:40], v[43:44]
	s_add_u32 s98, s12, s92
	s_addc_u32 s99, s13, s93
	global_store_b64 v5, v[39:40], s[96:97] offset:-8
	v_rcp_f64_e32 v[55:56], v[45:46]
	s_waitcnt_depctr 0xfff
	v_fma_f64 v[57:58], -v[45:46], v[55:56], 1.0
	s_delay_alu instid0(VALU_DEP_1) | instskip(NEXT) | instid1(VALU_DEP_1)
	v_fma_f64 v[55:56], v[55:56], v[57:58], v[55:56]
	v_fma_f64 v[57:58], -v[45:46], v[55:56], 1.0
	s_delay_alu instid0(VALU_DEP_1) | instskip(SKIP_1) | instid1(VALU_DEP_1)
	v_fma_f64 v[55:56], v[55:56], v[57:58], v[55:56]
	v_div_scale_f64 v[57:58], vcc_lo, v[43:44], v[39:40], v[43:44]
	v_mul_f64 v[59:60], v[57:58], v[55:56]
	s_delay_alu instid0(VALU_DEP_1) | instskip(NEXT) | instid1(VALU_DEP_1)
	v_fma_f64 v[45:46], -v[45:46], v[59:60], v[57:58]
	v_div_fmas_f64 v[45:46], v[45:46], v[55:56], v[59:60]
	global_load_b64 v[55:56], v5, s[98:99] offset:8
	s_and_not1_b32 vcc_lo, exec_lo, s21
	v_div_fixup_f64 v[39:40], v[45:46], v[39:40], v[43:44]
	s_waitcnt vmcnt(0)
	s_delay_alu instid0(VALU_DEP_1)
	v_fma_f64 v[43:44], -v[37:38], v[39:40], v[55:56]
	s_clause 0x1
	global_store_b32 v5, v51, s[88:89]
	global_store_b64 v5, v[43:44], s[96:97]
	s_cbranch_vccnz .LBB2_57
; %bb.56:                               ;   in Loop: Header=BB2_44 Depth=3
	global_load_b64 v[43:44], v5, s[98:99] offset:16
	s_add_u32 s96, s12, s90
	s_addc_u32 s97, s13, s91
	s_waitcnt vmcnt(0)
	v_mul_f64 v[45:46], v[43:44], -v[39:40]
	s_clause 0x1
	global_store_b64 v5, v[43:44], s[96:97]
	global_store_b64 v5, v[45:46], s[98:99] offset:16
.LBB2_57:                               ;   in Loop: Header=BB2_44 Depth=3
	v_dual_mov_b32 v46, v4 :: v_dual_mov_b32 v45, v3
	s_clause 0x1
	global_store_b64 v5, v[37:38], s[98:99] offset:8
	global_store_b64 v5, v[39:40], s[94:95]
.LBB2_58:                               ;   in Loop: Header=BB2_44 Depth=3
	s_delay_alu instid0(VALU_DEP_1)
	v_dual_mov_b32 v3, v45 :: v_dual_mov_b32 v4, v46
	s_cbranch_execnz .LBB2_62
.LBB2_59:                               ;   in Loop: Header=BB2_44 Depth=3
	s_and_not1_b32 vcc_lo, exec_lo, s21
	global_store_b32 v5, v5, s[88:89]
	s_cbranch_vccnz .LBB2_61
; %bb.60:                               ;   in Loop: Header=BB2_44 Depth=3
	v_mov_b32_e32 v6, v5
	s_add_u32 s94, s12, s90
	s_addc_u32 s95, s13, s91
	global_store_b64 v5, v[5:6], s[94:95]
.LBB2_61:                               ;   in Loop: Header=BB2_44 Depth=3
	v_mov_b32_e32 v41, 0
	v_dual_mov_b32 v42, 0 :: v_dual_mov_b32 v3, v33
	v_mov_b32_e32 v4, v34
.LBB2_62:                               ;   in Loop: Header=BB2_44 Depth=3
	s_delay_alu instid0(VALU_DEP_2) | instskip(SKIP_1) | instid1(VALU_DEP_1)
	v_max_f64 v[33:34], v[41:42], v[41:42]
	v_max_f64 v[35:36], v[35:36], v[35:36]
	;; [unrolled: 1-line block ×3, first 2 shown]
	s_delay_alu instid0(VALU_DEP_1)
	v_cmp_nle_f64_e32 vcc_lo, v[33:34], v[7:8]
	s_cbranch_vccnz .LBB2_43
; %bb.63:                               ;   in Loop: Header=BB2_44 Depth=3
	global_load_b32 v6, v5, s[78:79]
	s_waitcnt vmcnt(0)
	v_cmp_ne_u32_e32 vcc_lo, 0, v6
	s_cbranch_vccnz .LBB2_43
; %bb.64:                               ;   in Loop: Header=BB2_44 Depth=3
	v_mov_b32_e32 v6, s8
	global_store_b32 v5, v6, s[78:79]
	s_branch .LBB2_43
.LBB2_65:                               ;   in Loop: Header=BB2_22 Depth=2
	global_load_b64 v[33:34], v5, s[80:81]
	v_mul_f64 v[3:4], v[7:8], v[3:4]
	s_waitcnt vmcnt(0)
	s_delay_alu instid0(VALU_DEP_1) | instskip(NEXT) | instid1(VALU_DEP_1)
	v_cmp_le_f64_e64 s8, |v[33:34]|, v[3:4]
	s_and_b32 vcc_lo, exec_lo, s8
	s_cbranch_vccz .LBB2_68
; %bb.66:                               ;   in Loop: Header=BB2_22 Depth=2
	global_load_b32 v3, v5, s[78:79]
	s_waitcnt vmcnt(0)
	v_cmp_ne_u32_e32 vcc_lo, 0, v3
	s_cbranch_vccnz .LBB2_68
; %bb.67:                               ;   in Loop: Header=BB2_22 Depth=2
	global_store_b32 v5, v54, s[78:79]
.LBB2_68:                               ;   in Loop: Header=BB2_22 Depth=2
	s_or_b32 exec_lo, exec_lo, s7
	v_add_f64 v[1:2], v[17:18], -v[1:2]
	s_mov_b32 s95, 0
	s_mov_b32 s96, 0
	s_delay_alu instid0(VALU_DEP_1)
	v_cmp_gt_f64_e64 s94, |v[1:2]|, v[23:24]
.LBB2_69:                               ;   Parent Loop BB2_12 Depth=1
                                        ;     Parent Loop BB2_22 Depth=2
                                        ; =>    This Loop Header: Depth=3
                                        ;         Child Loop BB2_71 Depth 4
                                        ;         Child Loop BB2_110 Depth 4
                                        ;         Child Loop BB2_113 Depth 4
                                        ;         Child Loop BB2_116 Depth 4
                                        ;         Child Loop BB2_123 Depth 4
                                        ;           Child Loop BB2_130 Depth 5
                                        ;         Child Loop BB2_143 Depth 4
                                        ;           Child Loop BB2_144 Depth 5
                                        ;           Child Loop BB2_146 Depth 5
                                        ;         Child Loop BB2_151 Depth 4
	v_mov_b32_e32 v1, 0
	v_mov_b32_e32 v2, 0
	v_bfrev_b32_e32 v6, -2
	s_and_saveexec_b32 s8, s5
	s_cbranch_execz .LBB2_73
; %bb.70:                               ;   in Loop: Header=BB2_69 Depth=3
	v_mov_b32_e32 v1, 0
	v_dual_mov_b32 v2, 0 :: v_dual_mov_b32 v3, v9
	v_bfrev_b32_e32 v6, -2
	v_dual_mov_b32 v4, v10 :: v_dual_mov_b32 v33, v0
	s_mov_b32 s21, 0
	.p2align	6
.LBB2_71:                               ;   Parent Loop BB2_12 Depth=1
                                        ;     Parent Loop BB2_22 Depth=2
                                        ;       Parent Loop BB2_69 Depth=3
                                        ; =>      This Inner Loop Header: Depth=4
	global_load_b64 v[34:35], v[3:4], off
	v_cmp_eq_u32_e32 vcc_lo, 0x7fffffff, v6
	v_add_co_u32 v3, s7, 0x800, v3
	s_delay_alu instid0(VALU_DEP_1) | instskip(SKIP_2) | instid1(VALU_DEP_1)
	v_add_co_ci_u32_e64 v4, s7, 0, v4, s7
	s_waitcnt vmcnt(0)
	v_cmp_lt_f64_e64 s84, v[1:2], |v[34:35]|
	s_or_b32 vcc_lo, s84, vcc_lo
	v_dual_cndmask_b32 v1, v1, v34 :: v_dual_add_nc_u32 v36, 1, v33
	s_delay_alu instid0(VALU_DEP_1) | instskip(NEXT) | instid1(VALU_DEP_1)
	v_dual_cndmask_b32 v6, v6, v36 :: v_dual_and_b32 v35, 0x7fffffff, v35
	v_dual_cndmask_b32 v2, v2, v35 :: v_dual_add_nc_u32 v33, 0x100, v33
	s_delay_alu instid0(VALU_DEP_1) | instskip(NEXT) | instid1(VALU_DEP_1)
	v_cmp_lt_i32_e64 s7, s72, v33
	s_or_b32 s21, s7, s21
	s_delay_alu instid0(SALU_CYCLE_1)
	s_and_not1_b32 exec_lo, exec_lo, s21
	s_cbranch_execnz .LBB2_71
; %bb.72:                               ;   in Loop: Header=BB2_69 Depth=3
	s_or_b32 exec_lo, exec_lo, s21
.LBB2_73:                               ;   in Loop: Header=BB2_69 Depth=3
	s_delay_alu instid0(SALU_CYCLE_1)
	s_or_b32 exec_lo, exec_lo, s8
	ds_store_b64 v49, v[1:2]
	ds_store_b32 v50, v6 offset:4096
	s_waitcnt lgkmcnt(0)
	s_waitcnt_vscnt null, 0x0
	s_barrier
	buffer_gl0_inv
	s_and_saveexec_b32 s8, s0
	s_cbranch_execz .LBB2_79
; %bb.74:                               ;   in Loop: Header=BB2_69 Depth=3
	v_add_nc_u32_e32 v3, v50, v47
	s_mov_b32 s84, exec_lo
	ds_load_b32 v33, v48 offset:512
	ds_load_b64 v[3:4], v3 offset:1024
	s_waitcnt lgkmcnt(0)
	v_cmp_lt_f64_e64 s21, v[1:2], v[3:4]
	v_cmpx_nlt_f64_e32 v[1:2], v[3:4]
; %bb.75:                               ;   in Loop: Header=BB2_69 Depth=3
	v_cmp_eq_f64_e32 vcc_lo, v[1:2], v[3:4]
	v_cmp_gt_i32_e64 s7, v6, v33
	s_delay_alu instid0(VALU_DEP_4) | instskip(NEXT) | instid1(VALU_DEP_1)
	s_and_not1_b32 s21, s21, exec_lo
	s_and_b32 s7, vcc_lo, s7
	s_delay_alu instid0(SALU_CYCLE_1) | instskip(NEXT) | instid1(SALU_CYCLE_1)
	s_and_b32 s7, s7, exec_lo
	s_or_b32 s21, s21, s7
; %bb.76:                               ;   in Loop: Header=BB2_69 Depth=3
	s_or_b32 exec_lo, exec_lo, s84
	s_and_saveexec_b32 s7, s21
	s_cbranch_execz .LBB2_78
; %bb.77:                               ;   in Loop: Header=BB2_69 Depth=3
	v_dual_mov_b32 v6, v33 :: v_dual_mov_b32 v1, v3
	v_mov_b32_e32 v2, v4
	ds_store_b64 v49, v[3:4]
	ds_store_b32 v50, v33 offset:4096
.LBB2_78:                               ;   in Loop: Header=BB2_69 Depth=3
	s_or_b32 exec_lo, exec_lo, s7
.LBB2_79:                               ;   in Loop: Header=BB2_69 Depth=3
	s_delay_alu instid0(SALU_CYCLE_1)
	s_or_b32 exec_lo, exec_lo, s8
	s_waitcnt lgkmcnt(0)
	s_barrier
	buffer_gl0_inv
	s_and_saveexec_b32 s8, s1
	s_cbranch_execz .LBB2_85
; %bb.80:                               ;   in Loop: Header=BB2_69 Depth=3
	v_add_nc_u32_e32 v3, v50, v47
	s_mov_b32 s84, exec_lo
	ds_load_b32 v33, v48 offset:256
	ds_load_b64 v[3:4], v3 offset:512
	s_waitcnt lgkmcnt(0)
	v_cmp_lt_f64_e64 s21, v[1:2], v[3:4]
	v_cmpx_nlt_f64_e32 v[1:2], v[3:4]
; %bb.81:                               ;   in Loop: Header=BB2_69 Depth=3
	v_cmp_eq_f64_e32 vcc_lo, v[1:2], v[3:4]
	v_cmp_gt_i32_e64 s7, v6, v33
	s_delay_alu instid0(VALU_DEP_4) | instskip(NEXT) | instid1(VALU_DEP_1)
	s_and_not1_b32 s21, s21, exec_lo
	s_and_b32 s7, vcc_lo, s7
	s_delay_alu instid0(SALU_CYCLE_1) | instskip(NEXT) | instid1(SALU_CYCLE_1)
	s_and_b32 s7, s7, exec_lo
	s_or_b32 s21, s21, s7
; %bb.82:                               ;   in Loop: Header=BB2_69 Depth=3
	s_or_b32 exec_lo, exec_lo, s84
	s_and_saveexec_b32 s7, s21
	s_cbranch_execz .LBB2_84
; %bb.83:                               ;   in Loop: Header=BB2_69 Depth=3
	v_dual_mov_b32 v6, v33 :: v_dual_mov_b32 v1, v3
	v_mov_b32_e32 v2, v4
	ds_store_b64 v49, v[3:4]
	ds_store_b32 v50, v33 offset:4096
.LBB2_84:                               ;   in Loop: Header=BB2_69 Depth=3
	s_or_b32 exec_lo, exec_lo, s7
.LBB2_85:                               ;   in Loop: Header=BB2_69 Depth=3
	s_delay_alu instid0(SALU_CYCLE_1)
	s_or_b32 exec_lo, exec_lo, s8
	s_waitcnt lgkmcnt(0)
	s_barrier
	buffer_gl0_inv
	s_and_saveexec_b32 s84, s3
	s_cbranch_execz .LBB2_108
; %bb.86:                               ;   in Loop: Header=BB2_69 Depth=3
	v_add_nc_u32_e32 v33, v50, v47
	s_mov_b32 s21, exec_lo
	ds_load_b32 v34, v48 offset:128
	ds_load_b64 v[3:4], v33 offset:256
	s_waitcnt lgkmcnt(0)
	v_cmp_lt_f64_e64 s8, v[1:2], v[3:4]
	v_cmpx_nlt_f64_e32 v[1:2], v[3:4]
; %bb.87:                               ;   in Loop: Header=BB2_69 Depth=3
	v_cmp_eq_f64_e32 vcc_lo, v[1:2], v[3:4]
	v_cmp_gt_i32_e64 s7, v6, v34
	s_delay_alu instid0(VALU_DEP_4) | instskip(NEXT) | instid1(VALU_DEP_1)
	s_and_not1_b32 s8, s8, exec_lo
	s_and_b32 s7, vcc_lo, s7
	s_delay_alu instid0(SALU_CYCLE_1) | instskip(NEXT) | instid1(SALU_CYCLE_1)
	s_and_b32 s7, s7, exec_lo
	s_or_b32 s8, s8, s7
; %bb.88:                               ;   in Loop: Header=BB2_69 Depth=3
	s_or_b32 exec_lo, exec_lo, s21
	s_and_saveexec_b32 s7, s8
	s_cbranch_execz .LBB2_90
; %bb.89:                               ;   in Loop: Header=BB2_69 Depth=3
	v_dual_mov_b32 v1, v3 :: v_dual_mov_b32 v2, v4
	v_mov_b32_e32 v6, v34
	ds_store_b64 v49, v[3:4]
	ds_store_b32 v50, v34 offset:4096
.LBB2_90:                               ;   in Loop: Header=BB2_69 Depth=3
	s_or_b32 exec_lo, exec_lo, s7
	ds_load_b64 v[3:4], v33 offset:128
	ds_load_b32 v34, v48 offset:64
	s_mov_b32 s21, exec_lo
	s_waitcnt lgkmcnt(1)
	v_cmp_lt_f64_e64 s8, v[1:2], v[3:4]
	v_cmpx_nlt_f64_e32 v[1:2], v[3:4]
	s_cbranch_execz .LBB2_92
; %bb.91:                               ;   in Loop: Header=BB2_69 Depth=3
	v_cmp_eq_f64_e32 vcc_lo, v[1:2], v[3:4]
	s_waitcnt lgkmcnt(0)
	v_cmp_gt_i32_e64 s7, v6, v34
	s_delay_alu instid0(VALU_DEP_4) | instskip(NEXT) | instid1(VALU_DEP_1)
	s_and_not1_b32 s8, s8, exec_lo
	s_and_b32 s7, vcc_lo, s7
	s_delay_alu instid0(SALU_CYCLE_1) | instskip(NEXT) | instid1(SALU_CYCLE_1)
	s_and_b32 s7, s7, exec_lo
	s_or_b32 s8, s8, s7
.LBB2_92:                               ;   in Loop: Header=BB2_69 Depth=3
	s_or_b32 exec_lo, exec_lo, s21
	s_delay_alu instid0(VALU_DEP_2)
	s_and_saveexec_b32 s7, s8
	s_cbranch_execz .LBB2_94
; %bb.93:                               ;   in Loop: Header=BB2_69 Depth=3
	v_dual_mov_b32 v1, v3 :: v_dual_mov_b32 v2, v4
	s_waitcnt lgkmcnt(0)
	v_mov_b32_e32 v6, v34
	ds_store_b64 v49, v[3:4]
	ds_store_b32 v50, v34 offset:4096
.LBB2_94:                               ;   in Loop: Header=BB2_69 Depth=3
	s_or_b32 exec_lo, exec_lo, s7
	ds_load_b64 v[3:4], v33 offset:64
	s_waitcnt lgkmcnt(1)
	ds_load_b32 v34, v48 offset:32
	s_mov_b32 s21, exec_lo
	s_waitcnt lgkmcnt(1)
	v_cmp_lt_f64_e64 s8, v[1:2], v[3:4]
	v_cmpx_nlt_f64_e32 v[1:2], v[3:4]
	s_cbranch_execz .LBB2_96
; %bb.95:                               ;   in Loop: Header=BB2_69 Depth=3
	v_cmp_eq_f64_e32 vcc_lo, v[1:2], v[3:4]
	s_waitcnt lgkmcnt(0)
	v_cmp_gt_i32_e64 s7, v6, v34
	s_delay_alu instid0(VALU_DEP_4) | instskip(NEXT) | instid1(VALU_DEP_1)
	s_and_not1_b32 s8, s8, exec_lo
	s_and_b32 s7, vcc_lo, s7
	s_delay_alu instid0(SALU_CYCLE_1) | instskip(NEXT) | instid1(SALU_CYCLE_1)
	s_and_b32 s7, s7, exec_lo
	s_or_b32 s8, s8, s7
.LBB2_96:                               ;   in Loop: Header=BB2_69 Depth=3
	s_or_b32 exec_lo, exec_lo, s21
	s_delay_alu instid0(VALU_DEP_2)
	s_and_saveexec_b32 s7, s8
	s_cbranch_execz .LBB2_98
; %bb.97:                               ;   in Loop: Header=BB2_69 Depth=3
	v_dual_mov_b32 v1, v3 :: v_dual_mov_b32 v2, v4
	s_waitcnt lgkmcnt(0)
	v_mov_b32_e32 v6, v34
	ds_store_b64 v49, v[3:4]
	ds_store_b32 v50, v34 offset:4096
.LBB2_98:                               ;   in Loop: Header=BB2_69 Depth=3
	s_or_b32 exec_lo, exec_lo, s7
	ds_load_b64 v[3:4], v33 offset:32
	s_waitcnt lgkmcnt(1)
	ds_load_b32 v34, v48 offset:16
	s_mov_b32 s21, exec_lo
	s_waitcnt lgkmcnt(1)
	v_cmp_lt_f64_e64 s8, v[1:2], v[3:4]
	v_cmpx_nlt_f64_e32 v[1:2], v[3:4]
	s_cbranch_execz .LBB2_100
; %bb.99:                               ;   in Loop: Header=BB2_69 Depth=3
	v_cmp_eq_f64_e32 vcc_lo, v[1:2], v[3:4]
	s_waitcnt lgkmcnt(0)
	v_cmp_gt_i32_e64 s7, v6, v34
	s_delay_alu instid0(VALU_DEP_4) | instskip(NEXT) | instid1(VALU_DEP_1)
	s_and_not1_b32 s8, s8, exec_lo
	s_and_b32 s7, vcc_lo, s7
	s_delay_alu instid0(SALU_CYCLE_1) | instskip(NEXT) | instid1(SALU_CYCLE_1)
	s_and_b32 s7, s7, exec_lo
	s_or_b32 s8, s8, s7
.LBB2_100:                              ;   in Loop: Header=BB2_69 Depth=3
	s_or_b32 exec_lo, exec_lo, s21
	s_delay_alu instid0(VALU_DEP_2)
	s_and_saveexec_b32 s7, s8
	s_cbranch_execz .LBB2_102
; %bb.101:                              ;   in Loop: Header=BB2_69 Depth=3
	v_dual_mov_b32 v1, v3 :: v_dual_mov_b32 v2, v4
	s_waitcnt lgkmcnt(0)
	v_mov_b32_e32 v6, v34
	ds_store_b64 v49, v[3:4]
	ds_store_b32 v50, v34 offset:4096
.LBB2_102:                              ;   in Loop: Header=BB2_69 Depth=3
	s_or_b32 exec_lo, exec_lo, s7
	ds_load_b64 v[3:4], v33 offset:16
	s_waitcnt lgkmcnt(1)
	ds_load_b32 v34, v48 offset:8
	s_mov_b32 s21, exec_lo
	s_waitcnt lgkmcnt(1)
	v_cmp_lt_f64_e64 s8, v[1:2], v[3:4]
	v_cmpx_nlt_f64_e32 v[1:2], v[3:4]
	s_cbranch_execz .LBB2_104
; %bb.103:                              ;   in Loop: Header=BB2_69 Depth=3
	v_cmp_eq_f64_e32 vcc_lo, v[1:2], v[3:4]
	s_waitcnt lgkmcnt(0)
	v_cmp_gt_i32_e64 s7, v6, v34
	s_delay_alu instid0(VALU_DEP_4) | instskip(NEXT) | instid1(VALU_DEP_1)
	s_and_not1_b32 s8, s8, exec_lo
	s_and_b32 s7, vcc_lo, s7
	s_delay_alu instid0(SALU_CYCLE_1) | instskip(NEXT) | instid1(SALU_CYCLE_1)
	s_and_b32 s7, s7, exec_lo
	s_or_b32 s8, s8, s7
.LBB2_104:                              ;   in Loop: Header=BB2_69 Depth=3
	s_or_b32 exec_lo, exec_lo, s21
	s_delay_alu instid0(VALU_DEP_2)
	s_and_saveexec_b32 s7, s8
	s_cbranch_execz .LBB2_106
; %bb.105:                              ;   in Loop: Header=BB2_69 Depth=3
	v_dual_mov_b32 v1, v3 :: v_dual_mov_b32 v2, v4
	s_waitcnt lgkmcnt(0)
	v_mov_b32_e32 v6, v34
	ds_store_b64 v49, v[3:4]
	ds_store_b32 v50, v34 offset:4096
.LBB2_106:                              ;   in Loop: Header=BB2_69 Depth=3
	s_or_b32 exec_lo, exec_lo, s7
	ds_load_b64 v[3:4], v33 offset:8
	s_waitcnt lgkmcnt(0)
	v_cmp_eq_f64_e32 vcc_lo, v[1:2], v[3:4]
	v_cmp_lt_f64_e64 s7, v[1:2], v[3:4]
	ds_load_b32 v1, v48 offset:4
	s_waitcnt lgkmcnt(0)
	v_cmp_gt_i32_e64 s8, v6, v1
	s_delay_alu instid0(VALU_DEP_1) | instskip(NEXT) | instid1(SALU_CYCLE_1)
	s_and_b32 s8, vcc_lo, s8
	s_or_b32 s7, s7, s8
	s_delay_alu instid0(SALU_CYCLE_1)
	s_and_b32 exec_lo, exec_lo, s7
	s_cbranch_execz .LBB2_108
; %bb.107:                              ;   in Loop: Header=BB2_69 Depth=3
	ds_store_b64 v49, v[3:4]
	ds_store_b32 v50, v1 offset:4096
.LBB2_108:                              ;   in Loop: Header=BB2_69 Depth=3
	s_or_b32 exec_lo, exec_lo, s84
	s_waitcnt lgkmcnt(0)
	s_barrier
	buffer_gl0_inv
	s_and_saveexec_b32 s8, s5
	s_cbranch_execz .LBB2_111
; %bb.109:                              ;   in Loop: Header=BB2_69 Depth=3
	global_load_b64 v[1:2], v5, s[76:77]
	ds_load_b64 v[3:4], v53
	v_mov_b32_e32 v6, v0
	s_mov_b32 s21, 0
	s_waitcnt vmcnt(0)
	v_cmp_gt_f64_e64 vcc_lo, |v[1:2]|, s[16:17]
	v_and_b32_e32 v2, 0x7fffffff, v2
	s_delay_alu instid0(VALU_DEP_1) | instskip(SKIP_1) | instid1(VALU_DEP_1)
	v_cndmask_b32_e32 v2, s17, v2, vcc_lo
	v_cndmask_b32_e32 v1, s16, v1, vcc_lo
	v_mul_f64 v[1:2], v[29:30], v[1:2]
	s_waitcnt lgkmcnt(0)
	s_delay_alu instid0(VALU_DEP_1) | instskip(NEXT) | instid1(VALU_DEP_1)
	v_div_scale_f64 v[33:34], null, v[3:4], v[3:4], v[1:2]
	v_rcp_f64_e32 v[35:36], v[33:34]
	s_waitcnt_depctr 0xfff
	v_fma_f64 v[37:38], -v[33:34], v[35:36], 1.0
	s_delay_alu instid0(VALU_DEP_1) | instskip(NEXT) | instid1(VALU_DEP_1)
	v_fma_f64 v[35:36], v[35:36], v[37:38], v[35:36]
	v_fma_f64 v[37:38], -v[33:34], v[35:36], 1.0
	s_delay_alu instid0(VALU_DEP_1) | instskip(SKIP_1) | instid1(VALU_DEP_1)
	v_fma_f64 v[35:36], v[35:36], v[37:38], v[35:36]
	v_div_scale_f64 v[37:38], vcc_lo, v[1:2], v[3:4], v[1:2]
	v_mul_f64 v[39:40], v[37:38], v[35:36]
	s_delay_alu instid0(VALU_DEP_1) | instskip(NEXT) | instid1(VALU_DEP_1)
	v_fma_f64 v[33:34], -v[33:34], v[39:40], v[37:38]
	v_div_fmas_f64 v[33:34], v[33:34], v[35:36], v[39:40]
	s_delay_alu instid0(VALU_DEP_1)
	v_div_fixup_f64 v[1:2], v[33:34], v[3:4], v[1:2]
	v_dual_mov_b32 v3, v9 :: v_dual_mov_b32 v4, v10
	.p2align	6
.LBB2_110:                              ;   Parent Loop BB2_12 Depth=1
                                        ;     Parent Loop BB2_22 Depth=2
                                        ;       Parent Loop BB2_69 Depth=3
                                        ; =>      This Inner Loop Header: Depth=4
	global_load_b64 v[33:34], v[3:4], off
	v_add_nc_u32_e32 v6, 0x100, v6
	s_delay_alu instid0(VALU_DEP_1)
	v_cmp_lt_i32_e32 vcc_lo, s72, v6
	s_or_b32 s21, vcc_lo, s21
	s_waitcnt vmcnt(0)
	v_mul_f64 v[33:34], v[1:2], v[33:34]
	global_store_b64 v[3:4], v[33:34], off
	v_add_co_u32 v3, s7, 0x800, v3
	s_delay_alu instid0(VALU_DEP_1)
	v_add_co_ci_u32_e64 v4, s7, 0, v4, s7
	s_and_not1_b32 exec_lo, exec_lo, s21
	s_cbranch_execnz .LBB2_110
.LBB2_111:                              ;   in Loop: Header=BB2_69 Depth=3
	s_or_b32 exec_lo, exec_lo, s8
	s_waitcnt_vscnt null, 0x0
	s_barrier
	buffer_gl0_inv
	s_and_saveexec_b32 s97, s2
	s_cbranch_execz .LBB2_139
; %bb.112:                              ;   in Loop: Header=BB2_69 Depth=3
	s_clause 0x1
	global_load_b128 v[1:4], v5, s[26:27]
	global_load_b64 v[33:34], v5, s[46:47]
	s_and_not1_b32 vcc_lo, exec_lo, s28
	s_mov_b64 s[84:85], s[58:59]
	s_mov_b64 s[86:87], s[56:57]
	;; [unrolled: 1-line block ×3, first 2 shown]
	s_mov_b32 s7, s73
	s_waitcnt vmcnt(1)
	v_max_f64 v[3:4], |v[3:4]|, |v[3:4]|
	s_waitcnt vmcnt(0)
	v_max_f64 v[33:34], |v[33:34]|, |v[33:34]|
	v_max_f64 v[1:2], |v[1:2]|, |v[1:2]|
	s_delay_alu instid0(VALU_DEP_2) | instskip(NEXT) | instid1(VALU_DEP_1)
	v_max_f64 v[3:4], v[3:4], v[33:34]
	v_max_f64 v[33:34], v[1:2], v[3:4]
	s_cbranch_vccnz .LBB2_114
	.p2align	6
.LBB2_113:                              ;   Parent Loop BB2_12 Depth=1
                                        ;     Parent Loop BB2_22 Depth=2
                                        ;       Parent Loop BB2_69 Depth=3
                                        ; =>      This Inner Loop Header: Depth=4
	s_clause 0x2
	global_load_b64 v[1:2], v5, s[86:87]
	global_load_b64 v[3:4], v5, s[88:89]
	global_load_b64 v[35:36], v5, s[84:85]
	v_max_f64 v[33:34], v[33:34], v[33:34]
	s_add_i32 s7, s7, -1
	s_add_u32 s88, s88, 8
	s_addc_u32 s89, s89, 0
	s_add_u32 s86, s86, 8
	s_addc_u32 s87, s87, 0
	s_add_u32 s84, s84, 8
	s_addc_u32 s85, s85, 0
	s_cmp_lg_u32 s7, 0
	s_waitcnt vmcnt(2)
	v_max_f64 v[1:2], |v[1:2]|, |v[1:2]|
	s_waitcnt vmcnt(1)
	v_max_f64 v[3:4], |v[3:4]|, |v[3:4]|
	;; [unrolled: 2-line block ×3, first 2 shown]
	s_delay_alu instid0(VALU_DEP_3) | instskip(NEXT) | instid1(VALU_DEP_2)
	v_max_f64 v[1:2], v[33:34], v[1:2]
	v_max_f64 v[3:4], v[35:36], v[3:4]
	s_delay_alu instid0(VALU_DEP_1)
	v_max_f64 v[33:34], v[1:2], v[3:4]
	s_cbranch_scc1 .LBB2_113
.LBB2_114:                              ;   in Loop: Header=BB2_69 Depth=3
	s_mov_b32 s84, 1
	s_mov_b64 s[86:87], 0
	s_mov_b32 s7, s72
	s_mov_b64 s[88:89], s[14:15]
	s_branch .LBB2_116
.LBB2_115:                              ;   in Loop: Header=BB2_116 Depth=4
	s_add_u32 s92, s92, s86
	s_addc_u32 s93, s93, s87
	s_add_i32 s84, s84, 1
	global_load_b64 v[35:36], v5, s[92:93]
	s_add_u32 s86, s86, 8
	s_addc_u32 s87, s87, 0
	s_add_u32 s88, s88, 4
	s_addc_u32 s89, s89, 0
	s_add_i32 s7, s7, -1
	s_delay_alu instid0(SALU_CYCLE_1)
	s_cmp_lg_u32 s7, 0
	s_waitcnt vmcnt(0)
	v_fma_f64 v[1:2], -v[3:4], v[35:36], v[1:2]
	global_store_b64 v5, v[1:2], s[90:91]
	s_cbranch_scc0 .LBB2_120
.LBB2_116:                              ;   Parent Loop BB2_12 Depth=1
                                        ;     Parent Loop BB2_22 Depth=2
                                        ;       Parent Loop BB2_69 Depth=3
                                        ; =>      This Inner Loop Header: Depth=4
	global_load_b32 v1, v5, s[88:89]
	s_waitcnt vmcnt(0)
	v_cmp_ne_u32_e32 vcc_lo, 0, v1
	s_cbranch_vccz .LBB2_118
; %bb.117:                              ;   in Loop: Header=BB2_116 Depth=4
	s_add_u32 s92, s22, s86
	s_addc_u32 s93, s23, s87
	s_mov_b32 s85, 0
	global_load_b128 v[1:4], v5, s[92:93]
	s_lshl_b64 s[90:91], s[84:85], 3
	s_delay_alu instid0(SALU_CYCLE_1)
	s_add_u32 s90, s22, s90
	s_addc_u32 s91, s23, s91
	s_waitcnt vmcnt(0)
	global_store_b64 v5, v[3:4], s[92:93]
	s_mov_b64 s[92:93], s[42:43]
	s_cbranch_execnz .LBB2_115
	s_branch .LBB2_119
.LBB2_118:                              ;   in Loop: Header=BB2_116 Depth=4
                                        ; implicit-def: $sgpr90_sgpr91
                                        ; implicit-def: $vgpr1_vgpr2
	s_mov_b64 s[92:93], s[42:43]
.LBB2_119:                              ;   in Loop: Header=BB2_116 Depth=4
	s_add_u32 s92, s22, s86
	s_addc_u32 s93, s23, s87
	s_add_u32 s90, s92, 8
	s_addc_u32 s91, s93, 0
	;; [unrolled: 2-line block ×3, first 2 shown]
	s_clause 0x1
	global_load_b64 v[1:2], v5, s[92:93] offset:8
	global_load_b64 v[3:4], v5, s[98:99]
	s_mov_b64 s[92:93], s[22:23]
	s_branch .LBB2_115
.LBB2_120:                              ;   in Loop: Header=BB2_69 Depth=3
	v_mul_f64 v[1:2], v[33:34], s[16:17]
	s_delay_alu instid0(VALU_DEP_1) | instskip(SKIP_3) | instid1(VALU_DEP_2)
	v_cmp_eq_f64_e32 vcc_lo, 0, v[1:2]
	v_readfirstlane_b32 s7, v2
	v_readfirstlane_b32 s8, v1
	s_and_b32 s21, vcc_lo, exec_lo
	s_cselect_b32 s88, s17, s7
	s_delay_alu instid0(VALU_DEP_1)
	s_cselect_b32 s89, s16, s8
	s_and_b32 s90, s88, 0x7fffffff
	s_mov_b32 s91, s89
	s_mov_b32 s8, s72
	s_branch .LBB2_123
.LBB2_121:                              ;   in Loop: Header=BB2_123 Depth=4
	s_delay_alu instid0(VALU_DEP_1)
	v_dual_mov_b32 v3, v39 :: v_dual_mov_b32 v4, v40
.LBB2_122:                              ;   in Loop: Header=BB2_123 Depth=4
	s_delay_alu instid0(VALU_DEP_1) | instskip(SKIP_3) | instid1(VALU_DEP_1)
	v_div_scale_f64 v[33:34], null, v[3:4], v[3:4], v[1:2]
	s_add_i32 s7, s8, -1
	s_cmp_gt_i32 s8, 0
	s_mov_b32 s8, s7
	v_rcp_f64_e32 v[35:36], v[33:34]
	s_waitcnt_depctr 0xfff
	v_fma_f64 v[37:38], -v[33:34], v[35:36], 1.0
	s_delay_alu instid0(VALU_DEP_1) | instskip(NEXT) | instid1(VALU_DEP_1)
	v_fma_f64 v[35:36], v[35:36], v[37:38], v[35:36]
	v_fma_f64 v[37:38], -v[33:34], v[35:36], 1.0
	s_delay_alu instid0(VALU_DEP_1) | instskip(SKIP_1) | instid1(VALU_DEP_1)
	v_fma_f64 v[35:36], v[35:36], v[37:38], v[35:36]
	v_div_scale_f64 v[37:38], vcc_lo, v[1:2], v[3:4], v[1:2]
	v_mul_f64 v[39:40], v[37:38], v[35:36]
	s_delay_alu instid0(VALU_DEP_1) | instskip(NEXT) | instid1(VALU_DEP_1)
	v_fma_f64 v[33:34], -v[33:34], v[39:40], v[37:38]
	v_div_fmas_f64 v[33:34], v[33:34], v[35:36], v[39:40]
	s_delay_alu instid0(VALU_DEP_1)
	v_div_fixup_f64 v[1:2], v[33:34], v[3:4], v[1:2]
	global_store_b64 v5, v[1:2], s[84:85]
	s_cbranch_scc0 .LBB2_139
.LBB2_123:                              ;   Parent Loop BB2_12 Depth=1
                                        ;     Parent Loop BB2_22 Depth=2
                                        ;       Parent Loop BB2_69 Depth=3
                                        ; =>      This Loop Header: Depth=4
                                        ;           Child Loop BB2_130 Depth 5
	s_lshl_b64 s[86:87], s[8:9], 3
	s_delay_alu instid0(SALU_CYCLE_1)
	s_add_u32 s84, s22, s86
	s_addc_u32 s85, s23, s87
	s_cmp_ge_i32 s8, s72
	global_load_b64 v[1:2], v5, s[84:85]
	s_cbranch_scc1 .LBB2_125
; %bb.124:                              ;   in Loop: Header=BB2_123 Depth=4
	s_add_u32 s92, s46, s86
	s_addc_u32 s93, s47, s87
	s_clause 0x1
	global_load_b64 v[3:4], v5, s[92:93]
	global_load_b64 v[33:34], v5, s[84:85] offset:8
	s_waitcnt vmcnt(0)
	v_fma_f64 v[1:2], -v[3:4], v[33:34], v[1:2]
.LBB2_125:                              ;   in Loop: Header=BB2_123 Depth=4
	s_cmp_ge_i32 s8, s73
	s_cbranch_scc1 .LBB2_127
; %bb.126:                              ;   in Loop: Header=BB2_123 Depth=4
	s_add_u32 s92, s44, s86
	s_addc_u32 s93, s45, s87
	s_clause 0x1
	global_load_b64 v[3:4], v5, s[92:93]
	global_load_b64 v[33:34], v5, s[84:85] offset:16
	s_waitcnt vmcnt(0)
	v_fma_f64 v[1:2], -v[3:4], v[33:34], v[1:2]
.LBB2_127:                              ;   in Loop: Header=BB2_123 Depth=4
	s_add_u32 s86, s26, s86
	s_addc_u32 s87, s27, s87
	global_load_b64 v[3:4], v5, s[86:87]
	s_waitcnt vmcnt(0)
	v_cmp_nlt_f64_e64 s7, |v[3:4]|, 1.0
	s_delay_alu instid0(VALU_DEP_1)
	s_and_b32 vcc_lo, exec_lo, s7
	s_cbranch_vccnz .LBB2_122
; %bb.128:                              ;   in Loop: Header=BB2_123 Depth=4
	v_cmp_nle_f64_e32 vcc_lo, 0, v[3:4]
	v_mul_f64 v[33:34], |v[1:2]|, s[18:19]
	s_xor_b32 s7, s90, 0x80000000
	s_and_b32 s21, s88, 0x7fffffff
	v_dual_mov_b32 v37, v3 :: v_dual_and_b32 v38, 0x7fffffff, v4
	s_and_b32 s86, vcc_lo, exec_lo
	s_cselect_b32 s87, s7, s21
	s_cselect_b32 s86, s91, s89
	s_delay_alu instid0(SALU_CYCLE_1)
	v_dual_mov_b32 v35, s86 :: v_dual_mov_b32 v36, s87
	s_branch .LBB2_130
	.p2align	6
.LBB2_129:                              ;   in Loop: Header=BB2_130 Depth=5
	v_add_f64 v[39:40], v[3:4], v[35:36]
	v_add_f64 v[35:36], v[35:36], v[35:36]
	v_dual_mov_b32 v42, v4 :: v_dual_mov_b32 v41, v3
	s_mov_b32 s7, -1
	s_delay_alu instid0(VALU_DEP_3) | instskip(SKIP_2) | instid1(VALU_DEP_3)
	v_cmp_nlt_f64_e64 s21, |v[39:40]|, 1.0
	v_dual_mov_b32 v37, v39 :: v_dual_and_b32 v38, 0x7fffffff, v40
	v_dual_mov_b32 v3, v39 :: v_dual_mov_b32 v4, v40
	s_and_not1_b32 vcc_lo, exec_lo, s21
	s_cbranch_vccz .LBB2_137
.LBB2_130:                              ;   Parent Loop BB2_12 Depth=1
                                        ;     Parent Loop BB2_22 Depth=2
                                        ;       Parent Loop BB2_69 Depth=3
                                        ;         Parent Loop BB2_123 Depth=4
                                        ; =>        This Inner Loop Header: Depth=5
	s_delay_alu instid0(VALU_DEP_2)
	v_cmp_ngt_f64_e32 vcc_lo, s[18:19], v[37:38]
	s_cbranch_vccz .LBB2_132
; %bb.131:                              ;   in Loop: Header=BB2_130 Depth=5
	v_mul_f64 v[39:40], v[13:14], v[37:38]
	s_mov_b32 s86, 0
	s_mov_b32 s7, -1
	s_delay_alu instid0(VALU_DEP_1)
	v_cmp_gt_f64_e64 s21, |v[1:2]|, v[39:40]
	s_branch .LBB2_133
.LBB2_132:                              ;   in Loop: Header=BB2_130 Depth=5
	s_mov_b32 s86, -1
	s_mov_b32 s21, 0
                                        ; implicit-def: $sgpr7
.LBB2_133:                              ;   in Loop: Header=BB2_130 Depth=5
	v_dual_mov_b32 v40, v4 :: v_dual_mov_b32 v39, v3
	v_dual_mov_b32 v42, v4 :: v_dual_mov_b32 v41, v3
	s_and_not1_b32 vcc_lo, exec_lo, s86
	s_cbranch_vccnz .LBB2_135
; %bb.134:                              ;   in Loop: Header=BB2_130 Depth=5
	v_cmp_eq_f64_e32 vcc_lo, 0, v[3:4]
	v_cmp_gt_f64_e64 s7, v[33:34], v[37:38]
	v_dual_mov_b32 v42, v4 :: v_dual_mov_b32 v41, v3
                                        ; implicit-def: $vgpr39_vgpr40
	s_delay_alu instid0(VALU_DEP_2)
	s_or_b32 s21, vcc_lo, s7
	s_mov_b32 s7, 0
.LBB2_135:                              ;   in Loop: Header=BB2_130 Depth=5
	s_delay_alu instid0(VALU_DEP_3)
	s_and_not1_b32 vcc_lo, exec_lo, s21
	s_cbranch_vccz .LBB2_129
; %bb.136:                              ;   in Loop: Header=BB2_123 Depth=4
                                        ; implicit-def: $vgpr35_vgpr36
                                        ; implicit-def: $vgpr37_vgpr38
	v_dual_mov_b32 v3, v39 :: v_dual_mov_b32 v4, v40
.LBB2_137:                              ;   in Loop: Header=BB2_123 Depth=4
	s_and_not1_b32 vcc_lo, exec_lo, s7
	s_cbranch_vccz .LBB2_121
; %bb.138:                              ;   in Loop: Header=BB2_123 Depth=4
	v_mul_f64 v[1:2], v[13:14], v[1:2]
	v_mul_f64 v[39:40], v[13:14], v[41:42]
	s_branch .LBB2_121
.LBB2_139:                              ;   in Loop: Header=BB2_69 Depth=3
	s_or_b32 exec_lo, exec_lo, s97
	s_delay_alu instid0(SALU_CYCLE_1)
	s_and_not1_b32 vcc_lo, exec_lo, s83
	s_waitcnt_vscnt null, 0x0
	s_barrier
	buffer_gl0_inv
	s_cbranch_vccnz .LBB2_149
; %bb.140:                              ;   in Loop: Header=BB2_69 Depth=3
	s_and_b32 s7, s94, exec_lo
	s_cselect_b32 s7, s82, s63
	s_mov_b32 s63, s82
	s_cmp_eq_u32 s7, s82
	s_cbranch_scc1 .LBB2_149
; %bb.141:                              ;   in Loop: Header=BB2_69 Depth=3
	s_cmp_lt_i32 s7, s82
	s_cselect_b32 s8, -1, 0
	s_delay_alu instid0(SALU_CYCLE_1) | instskip(NEXT) | instid1(SALU_CYCLE_1)
	s_and_b32 s21, s2, s8
	s_and_saveexec_b32 s8, s21
	s_cbranch_execz .LBB2_148
; %bb.142:                              ;   in Loop: Header=BB2_69 Depth=3
	s_mul_i32 s21, s25, s7
	s_mov_b32 s63, s7
	s_add_i32 s21, s68, s21
	s_set_inst_prefetch_distance 0x1
	.p2align	6
.LBB2_143:                              ;   Parent Loop BB2_12 Depth=1
                                        ;     Parent Loop BB2_22 Depth=2
                                        ;       Parent Loop BB2_69 Depth=3
                                        ; =>      This Loop Header: Depth=4
                                        ;           Child Loop BB2_144 Depth 5
                                        ;           Child Loop BB2_146 Depth 5
	v_mov_b32_e32 v1, 0
	v_mov_b32_e32 v2, 0
	s_mov_b64 s[84:85], s[22:23]
	s_mov_b32 s86, s21
	s_mov_b32 s88, s29
.LBB2_144:                              ;   Parent Loop BB2_12 Depth=1
                                        ;     Parent Loop BB2_22 Depth=2
                                        ;       Parent Loop BB2_69 Depth=3
                                        ;         Parent Loop BB2_143 Depth=4
                                        ; =>        This Inner Loop Header: Depth=5
	s_ashr_i32 s87, s86, 31
	s_delay_alu instid0(SALU_CYCLE_1) | instskip(NEXT) | instid1(SALU_CYCLE_1)
	s_lshl_b64 s[90:91], s[86:87], 3
	s_add_u32 s90, s24, s90
	s_addc_u32 s91, s60, s91
	s_clause 0x1
	global_load_b64 v[3:4], v5, s[84:85]
	global_load_b64 v[33:34], v5, s[90:91]
	s_add_i32 s88, s88, -1
	s_add_i32 s86, s86, 1
	s_add_u32 s84, s84, 8
	s_addc_u32 s85, s85, 0
	s_cmp_lg_u32 s88, 0
	s_waitcnt vmcnt(0)
	v_fma_f64 v[1:2], v[3:4], v[33:34], v[1:2]
	s_cbranch_scc1 .LBB2_144
; %bb.145:                              ;   in Loop: Header=BB2_143 Depth=4
	s_mov_b32 s86, 0
	s_mov_b64 s[84:85], s[22:23]
	.p2align	6
.LBB2_146:                              ;   Parent Loop BB2_12 Depth=1
                                        ;     Parent Loop BB2_22 Depth=2
                                        ;       Parent Loop BB2_69 Depth=3
                                        ;         Parent Loop BB2_143 Depth=4
                                        ; =>        This Inner Loop Header: Depth=5
	s_add_i32 s88, s21, s86
	global_load_b64 v[3:4], v5, s[84:85]
	s_ashr_i32 s89, s88, 31
	s_delay_alu instid0(SALU_CYCLE_1) | instskip(NEXT) | instid1(SALU_CYCLE_1)
	s_lshl_b64 s[88:89], s[88:89], 3
	s_add_u32 s88, s24, s88
	s_addc_u32 s89, s60, s89
	s_add_i32 s86, s86, 1
	global_load_b64 v[33:34], v5, s[88:89]
	s_waitcnt vmcnt(0)
	v_fma_f64 v[3:4], -v[1:2], v[33:34], v[3:4]
	global_store_b64 v5, v[3:4], s[84:85]
	s_add_u32 s84, s84, 8
	s_addc_u32 s85, s85, 0
	s_cmp_lg_u32 s29, s86
	s_cbranch_scc1 .LBB2_146
; %bb.147:                              ;   in Loop: Header=BB2_143 Depth=4
	s_add_i32 s63, s63, 1
	s_add_i32 s21, s21, s25
	s_cmp_lt_i32 s63, s82
	s_cbranch_scc1 .LBB2_143
.LBB2_148:                              ;   in Loop: Header=BB2_69 Depth=3
	s_set_inst_prefetch_distance 0x2
	s_or_b32 exec_lo, exec_lo, s8
	s_mov_b32 s63, s7
	s_waitcnt_vscnt null, 0x0
	s_barrier
	buffer_gl0_inv
.LBB2_149:                              ;   in Loop: Header=BB2_69 Depth=3
	v_mov_b32_e32 v1, 0
	v_mov_b32_e32 v2, 0
	v_bfrev_b32_e32 v6, -2
	s_and_saveexec_b32 s8, s5
	s_cbranch_execz .LBB2_153
; %bb.150:                              ;   in Loop: Header=BB2_69 Depth=3
	v_mov_b32_e32 v1, 0
	v_dual_mov_b32 v2, 0 :: v_dual_mov_b32 v3, v9
	v_bfrev_b32_e32 v6, -2
	v_dual_mov_b32 v4, v10 :: v_dual_mov_b32 v33, v0
	s_mov_b32 s21, 0
	.p2align	6
.LBB2_151:                              ;   Parent Loop BB2_12 Depth=1
                                        ;     Parent Loop BB2_22 Depth=2
                                        ;       Parent Loop BB2_69 Depth=3
                                        ; =>      This Inner Loop Header: Depth=4
	global_load_b64 v[34:35], v[3:4], off
	v_cmp_eq_u32_e32 vcc_lo, 0x7fffffff, v6
	v_add_co_u32 v3, s7, 0x800, v3
	s_delay_alu instid0(VALU_DEP_1) | instskip(SKIP_2) | instid1(VALU_DEP_1)
	v_add_co_ci_u32_e64 v4, s7, 0, v4, s7
	s_waitcnt vmcnt(0)
	v_cmp_lt_f64_e64 s84, v[1:2], |v[34:35]|
	s_or_b32 vcc_lo, s84, vcc_lo
	v_dual_cndmask_b32 v1, v1, v34 :: v_dual_add_nc_u32 v36, 1, v33
	s_delay_alu instid0(VALU_DEP_1) | instskip(NEXT) | instid1(VALU_DEP_1)
	v_dual_cndmask_b32 v6, v6, v36 :: v_dual_and_b32 v35, 0x7fffffff, v35
	v_dual_cndmask_b32 v2, v2, v35 :: v_dual_add_nc_u32 v33, 0x100, v33
	s_delay_alu instid0(VALU_DEP_1) | instskip(NEXT) | instid1(VALU_DEP_1)
	v_cmp_lt_i32_e64 s7, s72, v33
	s_or_b32 s21, s7, s21
	s_delay_alu instid0(SALU_CYCLE_1)
	s_and_not1_b32 exec_lo, exec_lo, s21
	s_cbranch_execnz .LBB2_151
; %bb.152:                              ;   in Loop: Header=BB2_69 Depth=3
	s_or_b32 exec_lo, exec_lo, s21
.LBB2_153:                              ;   in Loop: Header=BB2_69 Depth=3
	s_delay_alu instid0(SALU_CYCLE_1)
	s_or_b32 exec_lo, exec_lo, s8
	ds_store_b64 v49, v[1:2]
	ds_store_b32 v50, v6 offset:4096
	s_waitcnt lgkmcnt(0)
	s_barrier
	buffer_gl0_inv
	s_and_saveexec_b32 s8, s0
	s_cbranch_execz .LBB2_159
; %bb.154:                              ;   in Loop: Header=BB2_69 Depth=3
	v_add_nc_u32_e32 v3, v50, v47
	s_mov_b32 s84, exec_lo
	ds_load_b32 v33, v48 offset:512
	ds_load_b64 v[3:4], v3 offset:1024
	s_waitcnt lgkmcnt(0)
	v_cmp_lt_f64_e64 s21, v[1:2], v[3:4]
	v_cmpx_nlt_f64_e32 v[1:2], v[3:4]
; %bb.155:                              ;   in Loop: Header=BB2_69 Depth=3
	v_cmp_eq_f64_e32 vcc_lo, v[1:2], v[3:4]
	v_cmp_gt_i32_e64 s7, v6, v33
	s_delay_alu instid0(VALU_DEP_4) | instskip(NEXT) | instid1(VALU_DEP_1)
	s_and_not1_b32 s21, s21, exec_lo
	s_and_b32 s7, vcc_lo, s7
	s_delay_alu instid0(SALU_CYCLE_1) | instskip(NEXT) | instid1(SALU_CYCLE_1)
	s_and_b32 s7, s7, exec_lo
	s_or_b32 s21, s21, s7
; %bb.156:                              ;   in Loop: Header=BB2_69 Depth=3
	s_or_b32 exec_lo, exec_lo, s84
	s_and_saveexec_b32 s7, s21
	s_cbranch_execz .LBB2_158
; %bb.157:                              ;   in Loop: Header=BB2_69 Depth=3
	v_dual_mov_b32 v6, v33 :: v_dual_mov_b32 v1, v3
	v_mov_b32_e32 v2, v4
	ds_store_b64 v49, v[3:4]
	ds_store_b32 v50, v33 offset:4096
.LBB2_158:                              ;   in Loop: Header=BB2_69 Depth=3
	s_or_b32 exec_lo, exec_lo, s7
.LBB2_159:                              ;   in Loop: Header=BB2_69 Depth=3
	s_delay_alu instid0(SALU_CYCLE_1)
	s_or_b32 exec_lo, exec_lo, s8
	s_waitcnt lgkmcnt(0)
	s_barrier
	buffer_gl0_inv
	s_and_saveexec_b32 s8, s1
	s_cbranch_execz .LBB2_165
; %bb.160:                              ;   in Loop: Header=BB2_69 Depth=3
	v_add_nc_u32_e32 v3, v50, v47
	s_mov_b32 s84, exec_lo
	ds_load_b32 v33, v48 offset:256
	ds_load_b64 v[3:4], v3 offset:512
	s_waitcnt lgkmcnt(0)
	v_cmp_lt_f64_e64 s21, v[1:2], v[3:4]
	v_cmpx_nlt_f64_e32 v[1:2], v[3:4]
; %bb.161:                              ;   in Loop: Header=BB2_69 Depth=3
	v_cmp_eq_f64_e32 vcc_lo, v[1:2], v[3:4]
	v_cmp_gt_i32_e64 s7, v6, v33
	s_delay_alu instid0(VALU_DEP_4) | instskip(NEXT) | instid1(VALU_DEP_1)
	s_and_not1_b32 s21, s21, exec_lo
	s_and_b32 s7, vcc_lo, s7
	s_delay_alu instid0(SALU_CYCLE_1) | instskip(NEXT) | instid1(SALU_CYCLE_1)
	s_and_b32 s7, s7, exec_lo
	s_or_b32 s21, s21, s7
; %bb.162:                              ;   in Loop: Header=BB2_69 Depth=3
	s_or_b32 exec_lo, exec_lo, s84
	s_and_saveexec_b32 s7, s21
	s_cbranch_execz .LBB2_164
; %bb.163:                              ;   in Loop: Header=BB2_69 Depth=3
	v_dual_mov_b32 v6, v33 :: v_dual_mov_b32 v1, v3
	v_mov_b32_e32 v2, v4
	ds_store_b64 v49, v[3:4]
	ds_store_b32 v50, v33 offset:4096
.LBB2_164:                              ;   in Loop: Header=BB2_69 Depth=3
	s_or_b32 exec_lo, exec_lo, s7
.LBB2_165:                              ;   in Loop: Header=BB2_69 Depth=3
	s_delay_alu instid0(SALU_CYCLE_1)
	s_or_b32 exec_lo, exec_lo, s8
	s_waitcnt lgkmcnt(0)
	s_barrier
	buffer_gl0_inv
	s_and_saveexec_b32 s84, s3
	s_cbranch_execz .LBB2_188
; %bb.166:                              ;   in Loop: Header=BB2_69 Depth=3
	v_add_nc_u32_e32 v33, v50, v47
	s_mov_b32 s21, exec_lo
	ds_load_b32 v34, v48 offset:128
	ds_load_b64 v[3:4], v33 offset:256
	s_waitcnt lgkmcnt(0)
	v_cmp_lt_f64_e64 s8, v[1:2], v[3:4]
	v_cmpx_nlt_f64_e32 v[1:2], v[3:4]
; %bb.167:                              ;   in Loop: Header=BB2_69 Depth=3
	v_cmp_eq_f64_e32 vcc_lo, v[1:2], v[3:4]
	v_cmp_gt_i32_e64 s7, v6, v34
	s_delay_alu instid0(VALU_DEP_4) | instskip(NEXT) | instid1(VALU_DEP_1)
	s_and_not1_b32 s8, s8, exec_lo
	s_and_b32 s7, vcc_lo, s7
	s_delay_alu instid0(SALU_CYCLE_1) | instskip(NEXT) | instid1(SALU_CYCLE_1)
	s_and_b32 s7, s7, exec_lo
	s_or_b32 s8, s8, s7
; %bb.168:                              ;   in Loop: Header=BB2_69 Depth=3
	s_or_b32 exec_lo, exec_lo, s21
	s_and_saveexec_b32 s7, s8
	s_cbranch_execz .LBB2_170
; %bb.169:                              ;   in Loop: Header=BB2_69 Depth=3
	v_dual_mov_b32 v1, v3 :: v_dual_mov_b32 v2, v4
	v_mov_b32_e32 v6, v34
	ds_store_b64 v49, v[3:4]
	ds_store_b32 v50, v34 offset:4096
.LBB2_170:                              ;   in Loop: Header=BB2_69 Depth=3
	s_or_b32 exec_lo, exec_lo, s7
	ds_load_b64 v[3:4], v33 offset:128
	ds_load_b32 v34, v48 offset:64
	s_mov_b32 s21, exec_lo
	s_waitcnt lgkmcnt(1)
	v_cmp_lt_f64_e64 s8, v[1:2], v[3:4]
	v_cmpx_nlt_f64_e32 v[1:2], v[3:4]
	s_cbranch_execz .LBB2_172
; %bb.171:                              ;   in Loop: Header=BB2_69 Depth=3
	v_cmp_eq_f64_e32 vcc_lo, v[1:2], v[3:4]
	s_waitcnt lgkmcnt(0)
	v_cmp_gt_i32_e64 s7, v6, v34
	s_delay_alu instid0(VALU_DEP_4) | instskip(NEXT) | instid1(VALU_DEP_1)
	s_and_not1_b32 s8, s8, exec_lo
	s_and_b32 s7, vcc_lo, s7
	s_delay_alu instid0(SALU_CYCLE_1) | instskip(NEXT) | instid1(SALU_CYCLE_1)
	s_and_b32 s7, s7, exec_lo
	s_or_b32 s8, s8, s7
.LBB2_172:                              ;   in Loop: Header=BB2_69 Depth=3
	s_or_b32 exec_lo, exec_lo, s21
	s_delay_alu instid0(VALU_DEP_2)
	s_and_saveexec_b32 s7, s8
	s_cbranch_execz .LBB2_174
; %bb.173:                              ;   in Loop: Header=BB2_69 Depth=3
	v_dual_mov_b32 v1, v3 :: v_dual_mov_b32 v2, v4
	s_waitcnt lgkmcnt(0)
	v_mov_b32_e32 v6, v34
	ds_store_b64 v49, v[3:4]
	ds_store_b32 v50, v34 offset:4096
.LBB2_174:                              ;   in Loop: Header=BB2_69 Depth=3
	s_or_b32 exec_lo, exec_lo, s7
	ds_load_b64 v[3:4], v33 offset:64
	s_waitcnt lgkmcnt(1)
	ds_load_b32 v34, v48 offset:32
	s_mov_b32 s21, exec_lo
	s_waitcnt lgkmcnt(1)
	v_cmp_lt_f64_e64 s8, v[1:2], v[3:4]
	v_cmpx_nlt_f64_e32 v[1:2], v[3:4]
	s_cbranch_execz .LBB2_176
; %bb.175:                              ;   in Loop: Header=BB2_69 Depth=3
	v_cmp_eq_f64_e32 vcc_lo, v[1:2], v[3:4]
	s_waitcnt lgkmcnt(0)
	v_cmp_gt_i32_e64 s7, v6, v34
	s_delay_alu instid0(VALU_DEP_4) | instskip(NEXT) | instid1(VALU_DEP_1)
	s_and_not1_b32 s8, s8, exec_lo
	s_and_b32 s7, vcc_lo, s7
	s_delay_alu instid0(SALU_CYCLE_1) | instskip(NEXT) | instid1(SALU_CYCLE_1)
	s_and_b32 s7, s7, exec_lo
	s_or_b32 s8, s8, s7
.LBB2_176:                              ;   in Loop: Header=BB2_69 Depth=3
	s_or_b32 exec_lo, exec_lo, s21
	s_delay_alu instid0(VALU_DEP_2)
	s_and_saveexec_b32 s7, s8
	s_cbranch_execz .LBB2_178
; %bb.177:                              ;   in Loop: Header=BB2_69 Depth=3
	v_dual_mov_b32 v1, v3 :: v_dual_mov_b32 v2, v4
	s_waitcnt lgkmcnt(0)
	v_mov_b32_e32 v6, v34
	ds_store_b64 v49, v[3:4]
	ds_store_b32 v50, v34 offset:4096
.LBB2_178:                              ;   in Loop: Header=BB2_69 Depth=3
	s_or_b32 exec_lo, exec_lo, s7
	ds_load_b64 v[3:4], v33 offset:32
	s_waitcnt lgkmcnt(1)
	;; [unrolled: 31-line block ×4, first 2 shown]
	v_cmp_eq_f64_e32 vcc_lo, v[1:2], v[3:4]
	v_cmp_lt_f64_e64 s7, v[1:2], v[3:4]
	ds_load_b32 v1, v48 offset:4
	s_waitcnt lgkmcnt(0)
	v_cmp_gt_i32_e64 s8, v6, v1
	s_delay_alu instid0(VALU_DEP_1) | instskip(NEXT) | instid1(SALU_CYCLE_1)
	s_and_b32 s8, vcc_lo, s8
	s_or_b32 s7, s7, s8
	s_delay_alu instid0(SALU_CYCLE_1)
	s_and_b32 exec_lo, exec_lo, s7
	s_cbranch_execz .LBB2_188
; %bb.187:                              ;   in Loop: Header=BB2_69 Depth=3
	ds_store_b64 v49, v[3:4]
	ds_store_b32 v50, v1 offset:4096
.LBB2_188:                              ;   in Loop: Header=BB2_69 Depth=3
	s_or_b32 exec_lo, exec_lo, s84
	s_waitcnt lgkmcnt(0)
	s_barrier
	buffer_gl0_inv
	ds_load_b64 v[1:2], v53
	s_waitcnt lgkmcnt(0)
	v_cmp_ge_f64_e32 vcc_lo, v[1:2], v[21:22]
	s_cmp_lg_u32 vcc_lo, 0
	s_addc_u32 s95, s95, 0
	s_add_i32 s7, s96, 1
	s_cmp_lt_u32 s96, 4
	s_cselect_b32 s21, -1, 0
	s_cmp_lt_u32 s95, 2
	s_cselect_b32 s8, -1, 0
	s_delay_alu instid0(SALU_CYCLE_1) | instskip(NEXT) | instid1(SALU_CYCLE_1)
	s_and_b32 s21, s21, s8
	s_and_b32 vcc_lo, exec_lo, s21
	s_cbranch_vccz .LBB2_190
; %bb.189:                              ;   in Loop: Header=BB2_69 Depth=3
	s_mov_b32 s96, s7
	s_branch .LBB2_69
.LBB2_190:                              ;   in Loop: Header=BB2_22 Depth=2
	s_and_b32 s8, s61, s8
	s_delay_alu instid0(SALU_CYCLE_1)
	s_and_saveexec_b32 s7, s8
	s_cbranch_execz .LBB2_192
; %bb.191:                              ;   in Loop: Header=BB2_22 Depth=2
	ds_load_b32 v1, v5
	s_add_i32 s8, s82, 1
	s_delay_alu instid0(SALU_CYCLE_1) | instskip(SKIP_2) | instid1(VALU_DEP_1)
	v_mov_b32_e32 v4, s8
	s_waitcnt lgkmcnt(0)
	v_ashrrev_i32_e32 v2, 31, v1
	v_lshlrev_b64 v[2:3], 2, v[1:2]
	v_add_nc_u32_e32 v1, 1, v1
	s_delay_alu instid0(VALU_DEP_2) | instskip(NEXT) | instid1(VALU_DEP_3)
	v_add_co_u32 v2, vcc_lo, s34, v2
	v_add_co_ci_u32_e32 v3, vcc_lo, s35, v3, vcc_lo
	flat_store_b32 v[2:3], v4
	ds_store_b32 v5, v1
.LBB2_192:                              ;   in Loop: Header=BB2_22 Depth=2
	s_or_b32 exec_lo, exec_lo, s7
	v_mov_b32_e32 v1, 0
	v_mov_b32_e32 v2, 0
	v_bfrev_b32_e32 v33, -2
	s_and_saveexec_b32 s8, s5
	s_cbranch_execz .LBB2_196
; %bb.193:                              ;   in Loop: Header=BB2_22 Depth=2
	v_mov_b32_e32 v1, 0
	v_dual_mov_b32 v2, 0 :: v_dual_mov_b32 v3, v9
	v_bfrev_b32_e32 v33, -2
	v_mov_b32_e32 v4, v10
	v_mov_b32_e32 v6, v0
	s_mov_b32 s21, 0
	.p2align	6
.LBB2_194:                              ;   Parent Loop BB2_12 Depth=1
                                        ;     Parent Loop BB2_22 Depth=2
                                        ; =>    This Inner Loop Header: Depth=3
	global_load_b64 v[34:35], v[3:4], off
	v_cmp_eq_u32_e32 vcc_lo, 0x7fffffff, v33
	v_add_nc_u32_e32 v36, 1, v6
	v_add_co_u32 v3, s7, 0x800, v3
	s_delay_alu instid0(VALU_DEP_1) | instskip(SKIP_3) | instid1(VALU_DEP_2)
	v_add_co_ci_u32_e64 v4, s7, 0, v4, s7
	s_waitcnt vmcnt(0)
	v_cmp_lt_f64_e64 s83, v[1:2], |v[34:35]|
	v_and_b32_e32 v35, 0x7fffffff, v35
	s_or_b32 vcc_lo, s83, vcc_lo
	v_dual_cndmask_b32 v33, v33, v36 :: v_dual_add_nc_u32 v6, 0x100, v6
	s_delay_alu instid0(VALU_DEP_2) | instskip(NEXT) | instid1(VALU_DEP_2)
	v_dual_cndmask_b32 v2, v2, v35 :: v_dual_cndmask_b32 v1, v1, v34
	v_cmp_lt_i32_e64 s7, s72, v6
	s_delay_alu instid0(VALU_DEP_1) | instskip(NEXT) | instid1(SALU_CYCLE_1)
	s_or_b32 s21, s7, s21
	s_and_not1_b32 exec_lo, exec_lo, s21
	s_cbranch_execnz .LBB2_194
; %bb.195:                              ;   in Loop: Header=BB2_22 Depth=2
	s_or_b32 exec_lo, exec_lo, s21
.LBB2_196:                              ;   in Loop: Header=BB2_22 Depth=2
	s_delay_alu instid0(SALU_CYCLE_1)
	s_or_b32 exec_lo, exec_lo, s8
	v_add_nc_u32_e32 v6, v50, v47
	ds_store_b64 v49, v[1:2]
	ds_store_b32 v50, v33 offset:4096
	s_waitcnt lgkmcnt(0)
	s_waitcnt_vscnt null, 0x0
	s_barrier
	buffer_gl0_inv
	s_and_saveexec_b32 s8, s0
	s_cbranch_execz .LBB2_202
; %bb.197:                              ;   in Loop: Header=BB2_22 Depth=2
	ds_load_b64 v[3:4], v6 offset:1024
	ds_load_b32 v34, v48 offset:512
	s_mov_b32 s83, exec_lo
	s_waitcnt lgkmcnt(1)
	v_cmp_lt_f64_e64 s21, v[1:2], v[3:4]
	v_cmpx_nlt_f64_e32 v[1:2], v[3:4]
	s_cbranch_execz .LBB2_199
; %bb.198:                              ;   in Loop: Header=BB2_22 Depth=2
	v_cmp_eq_f64_e32 vcc_lo, v[1:2], v[3:4]
	s_waitcnt lgkmcnt(0)
	v_cmp_gt_i32_e64 s7, v33, v34
	s_delay_alu instid0(VALU_DEP_4) | instskip(NEXT) | instid1(VALU_DEP_1)
	s_and_not1_b32 s21, s21, exec_lo
	s_and_b32 s7, vcc_lo, s7
	s_delay_alu instid0(SALU_CYCLE_1) | instskip(NEXT) | instid1(SALU_CYCLE_1)
	s_and_b32 s7, s7, exec_lo
	s_or_b32 s21, s21, s7
.LBB2_199:                              ;   in Loop: Header=BB2_22 Depth=2
	s_or_b32 exec_lo, exec_lo, s83
	s_delay_alu instid0(VALU_DEP_2)
	s_and_saveexec_b32 s7, s21
	s_cbranch_execz .LBB2_201
; %bb.200:                              ;   in Loop: Header=BB2_22 Depth=2
	v_mov_b32_e32 v1, v3
	s_waitcnt lgkmcnt(0)
	v_dual_mov_b32 v33, v34 :: v_dual_mov_b32 v2, v4
	ds_store_b64 v49, v[3:4]
	ds_store_b32 v50, v34 offset:4096
.LBB2_201:                              ;   in Loop: Header=BB2_22 Depth=2
	s_or_b32 exec_lo, exec_lo, s7
.LBB2_202:                              ;   in Loop: Header=BB2_22 Depth=2
	s_delay_alu instid0(SALU_CYCLE_1)
	s_or_b32 exec_lo, exec_lo, s8
	s_waitcnt lgkmcnt(0)
	s_barrier
	buffer_gl0_inv
	s_and_saveexec_b32 s8, s1
	s_cbranch_execz .LBB2_208
; %bb.203:                              ;   in Loop: Header=BB2_22 Depth=2
	ds_load_b64 v[3:4], v6 offset:512
	ds_load_b32 v34, v48 offset:256
	s_mov_b32 s83, exec_lo
	s_waitcnt lgkmcnt(1)
	v_cmp_lt_f64_e64 s21, v[1:2], v[3:4]
	v_cmpx_nlt_f64_e32 v[1:2], v[3:4]
	s_cbranch_execz .LBB2_205
; %bb.204:                              ;   in Loop: Header=BB2_22 Depth=2
	v_cmp_eq_f64_e32 vcc_lo, v[1:2], v[3:4]
	s_waitcnt lgkmcnt(0)
	v_cmp_gt_i32_e64 s7, v33, v34
	s_delay_alu instid0(VALU_DEP_4) | instskip(NEXT) | instid1(VALU_DEP_1)
	s_and_not1_b32 s21, s21, exec_lo
	s_and_b32 s7, vcc_lo, s7
	s_delay_alu instid0(SALU_CYCLE_1) | instskip(NEXT) | instid1(SALU_CYCLE_1)
	s_and_b32 s7, s7, exec_lo
	s_or_b32 s21, s21, s7
.LBB2_205:                              ;   in Loop: Header=BB2_22 Depth=2
	s_or_b32 exec_lo, exec_lo, s83
	s_delay_alu instid0(VALU_DEP_2)
	s_and_saveexec_b32 s7, s21
	s_cbranch_execz .LBB2_207
; %bb.206:                              ;   in Loop: Header=BB2_22 Depth=2
	v_mov_b32_e32 v1, v3
	s_waitcnt lgkmcnt(0)
	v_dual_mov_b32 v33, v34 :: v_dual_mov_b32 v2, v4
	ds_store_b64 v49, v[3:4]
	ds_store_b32 v50, v34 offset:4096
.LBB2_207:                              ;   in Loop: Header=BB2_22 Depth=2
	s_or_b32 exec_lo, exec_lo, s7
.LBB2_208:                              ;   in Loop: Header=BB2_22 Depth=2
	s_delay_alu instid0(SALU_CYCLE_1)
	s_or_b32 exec_lo, exec_lo, s8
	s_waitcnt lgkmcnt(0)
	s_barrier
	buffer_gl0_inv
	s_and_saveexec_b32 s83, s3
	s_cbranch_execz .LBB2_231
; %bb.209:                              ;   in Loop: Header=BB2_22 Depth=2
	ds_load_b64 v[3:4], v6 offset:256
	ds_load_b32 v34, v48 offset:128
	s_mov_b32 s21, exec_lo
	s_waitcnt lgkmcnt(1)
	v_cmp_lt_f64_e64 s8, v[1:2], v[3:4]
	v_cmpx_nlt_f64_e32 v[1:2], v[3:4]
	s_cbranch_execz .LBB2_211
; %bb.210:                              ;   in Loop: Header=BB2_22 Depth=2
	v_cmp_eq_f64_e32 vcc_lo, v[1:2], v[3:4]
	s_waitcnt lgkmcnt(0)
	v_cmp_gt_i32_e64 s7, v33, v34
	s_delay_alu instid0(VALU_DEP_4) | instskip(NEXT) | instid1(VALU_DEP_1)
	s_and_not1_b32 s8, s8, exec_lo
	s_and_b32 s7, vcc_lo, s7
	s_delay_alu instid0(SALU_CYCLE_1) | instskip(NEXT) | instid1(SALU_CYCLE_1)
	s_and_b32 s7, s7, exec_lo
	s_or_b32 s8, s8, s7
.LBB2_211:                              ;   in Loop: Header=BB2_22 Depth=2
	s_or_b32 exec_lo, exec_lo, s21
	s_delay_alu instid0(VALU_DEP_2)
	s_and_saveexec_b32 s7, s8
	s_cbranch_execz .LBB2_213
; %bb.212:                              ;   in Loop: Header=BB2_22 Depth=2
	v_dual_mov_b32 v1, v3 :: v_dual_mov_b32 v2, v4
	s_waitcnt lgkmcnt(0)
	v_mov_b32_e32 v33, v34
	ds_store_b64 v49, v[3:4]
	ds_store_b32 v50, v34 offset:4096
.LBB2_213:                              ;   in Loop: Header=BB2_22 Depth=2
	s_or_b32 exec_lo, exec_lo, s7
	ds_load_b64 v[3:4], v6 offset:128
	s_waitcnt lgkmcnt(1)
	ds_load_b32 v34, v48 offset:64
	s_mov_b32 s21, exec_lo
	s_waitcnt lgkmcnt(1)
	v_cmp_lt_f64_e64 s8, v[1:2], v[3:4]
	v_cmpx_nlt_f64_e32 v[1:2], v[3:4]
	s_cbranch_execz .LBB2_215
; %bb.214:                              ;   in Loop: Header=BB2_22 Depth=2
	v_cmp_eq_f64_e32 vcc_lo, v[1:2], v[3:4]
	s_waitcnt lgkmcnt(0)
	v_cmp_gt_i32_e64 s7, v33, v34
	s_delay_alu instid0(VALU_DEP_4) | instskip(NEXT) | instid1(VALU_DEP_1)
	s_and_not1_b32 s8, s8, exec_lo
	s_and_b32 s7, vcc_lo, s7
	s_delay_alu instid0(SALU_CYCLE_1) | instskip(NEXT) | instid1(SALU_CYCLE_1)
	s_and_b32 s7, s7, exec_lo
	s_or_b32 s8, s8, s7
.LBB2_215:                              ;   in Loop: Header=BB2_22 Depth=2
	s_or_b32 exec_lo, exec_lo, s21
	s_delay_alu instid0(VALU_DEP_2)
	s_and_saveexec_b32 s7, s8
	s_cbranch_execz .LBB2_217
; %bb.216:                              ;   in Loop: Header=BB2_22 Depth=2
	v_dual_mov_b32 v1, v3 :: v_dual_mov_b32 v2, v4
	s_waitcnt lgkmcnt(0)
	v_mov_b32_e32 v33, v34
	ds_store_b64 v49, v[3:4]
	ds_store_b32 v50, v34 offset:4096
.LBB2_217:                              ;   in Loop: Header=BB2_22 Depth=2
	s_or_b32 exec_lo, exec_lo, s7
	ds_load_b64 v[3:4], v6 offset:64
	s_waitcnt lgkmcnt(1)
	ds_load_b32 v34, v48 offset:32
	s_mov_b32 s21, exec_lo
	s_waitcnt lgkmcnt(1)
	v_cmp_lt_f64_e64 s8, v[1:2], v[3:4]
	v_cmpx_nlt_f64_e32 v[1:2], v[3:4]
	s_cbranch_execz .LBB2_219
; %bb.218:                              ;   in Loop: Header=BB2_22 Depth=2
	v_cmp_eq_f64_e32 vcc_lo, v[1:2], v[3:4]
	s_waitcnt lgkmcnt(0)
	v_cmp_gt_i32_e64 s7, v33, v34
	s_delay_alu instid0(VALU_DEP_4) | instskip(NEXT) | instid1(VALU_DEP_1)
	s_and_not1_b32 s8, s8, exec_lo
	s_and_b32 s7, vcc_lo, s7
	s_delay_alu instid0(SALU_CYCLE_1) | instskip(NEXT) | instid1(SALU_CYCLE_1)
	s_and_b32 s7, s7, exec_lo
	s_or_b32 s8, s8, s7
.LBB2_219:                              ;   in Loop: Header=BB2_22 Depth=2
	s_or_b32 exec_lo, exec_lo, s21
	s_delay_alu instid0(VALU_DEP_2)
	s_and_saveexec_b32 s7, s8
	s_cbranch_execz .LBB2_221
; %bb.220:                              ;   in Loop: Header=BB2_22 Depth=2
	v_dual_mov_b32 v1, v3 :: v_dual_mov_b32 v2, v4
	s_waitcnt lgkmcnt(0)
	v_mov_b32_e32 v33, v34
	ds_store_b64 v49, v[3:4]
	ds_store_b32 v50, v34 offset:4096
.LBB2_221:                              ;   in Loop: Header=BB2_22 Depth=2
	s_or_b32 exec_lo, exec_lo, s7
	ds_load_b64 v[3:4], v6 offset:32
	s_waitcnt lgkmcnt(1)
	ds_load_b32 v34, v48 offset:16
	s_mov_b32 s21, exec_lo
	s_waitcnt lgkmcnt(1)
	v_cmp_lt_f64_e64 s8, v[1:2], v[3:4]
	v_cmpx_nlt_f64_e32 v[1:2], v[3:4]
	s_cbranch_execz .LBB2_223
; %bb.222:                              ;   in Loop: Header=BB2_22 Depth=2
	v_cmp_eq_f64_e32 vcc_lo, v[1:2], v[3:4]
	s_waitcnt lgkmcnt(0)
	v_cmp_gt_i32_e64 s7, v33, v34
	s_delay_alu instid0(VALU_DEP_4) | instskip(NEXT) | instid1(VALU_DEP_1)
	s_and_not1_b32 s8, s8, exec_lo
	s_and_b32 s7, vcc_lo, s7
	s_delay_alu instid0(SALU_CYCLE_1) | instskip(NEXT) | instid1(SALU_CYCLE_1)
	s_and_b32 s7, s7, exec_lo
	s_or_b32 s8, s8, s7
.LBB2_223:                              ;   in Loop: Header=BB2_22 Depth=2
	s_or_b32 exec_lo, exec_lo, s21
	s_delay_alu instid0(VALU_DEP_2)
	s_and_saveexec_b32 s7, s8
	s_cbranch_execz .LBB2_225
; %bb.224:                              ;   in Loop: Header=BB2_22 Depth=2
	v_dual_mov_b32 v1, v3 :: v_dual_mov_b32 v2, v4
	s_waitcnt lgkmcnt(0)
	v_mov_b32_e32 v33, v34
	ds_store_b64 v49, v[3:4]
	ds_store_b32 v50, v34 offset:4096
.LBB2_225:                              ;   in Loop: Header=BB2_22 Depth=2
	s_or_b32 exec_lo, exec_lo, s7
	ds_load_b64 v[3:4], v6 offset:16
	s_waitcnt lgkmcnt(1)
	ds_load_b32 v34, v48 offset:8
	s_mov_b32 s21, exec_lo
	s_waitcnt lgkmcnt(1)
	v_cmp_lt_f64_e64 s8, v[1:2], v[3:4]
	v_cmpx_nlt_f64_e32 v[1:2], v[3:4]
	s_cbranch_execz .LBB2_227
; %bb.226:                              ;   in Loop: Header=BB2_22 Depth=2
	v_cmp_eq_f64_e32 vcc_lo, v[1:2], v[3:4]
	s_waitcnt lgkmcnt(0)
	v_cmp_gt_i32_e64 s7, v33, v34
	s_delay_alu instid0(VALU_DEP_4) | instskip(NEXT) | instid1(VALU_DEP_1)
	s_and_not1_b32 s8, s8, exec_lo
	s_and_b32 s7, vcc_lo, s7
	s_delay_alu instid0(SALU_CYCLE_1) | instskip(NEXT) | instid1(SALU_CYCLE_1)
	s_and_b32 s7, s7, exec_lo
	s_or_b32 s8, s8, s7
.LBB2_227:                              ;   in Loop: Header=BB2_22 Depth=2
	s_or_b32 exec_lo, exec_lo, s21
	s_delay_alu instid0(VALU_DEP_2)
	s_and_saveexec_b32 s7, s8
	s_cbranch_execz .LBB2_229
; %bb.228:                              ;   in Loop: Header=BB2_22 Depth=2
	v_dual_mov_b32 v1, v3 :: v_dual_mov_b32 v2, v4
	s_waitcnt lgkmcnt(0)
	v_mov_b32_e32 v33, v34
	ds_store_b64 v49, v[3:4]
	ds_store_b32 v50, v34 offset:4096
.LBB2_229:                              ;   in Loop: Header=BB2_22 Depth=2
	s_or_b32 exec_lo, exec_lo, s7
	ds_load_b64 v[3:4], v6 offset:8
	s_waitcnt lgkmcnt(0)
	v_cmp_eq_f64_e32 vcc_lo, v[1:2], v[3:4]
	v_cmp_lt_f64_e64 s7, v[1:2], v[3:4]
	ds_load_b32 v1, v48 offset:4
	s_waitcnt lgkmcnt(0)
	v_cmp_gt_i32_e64 s8, v33, v1
	s_delay_alu instid0(VALU_DEP_1) | instskip(NEXT) | instid1(SALU_CYCLE_1)
	s_and_b32 s8, vcc_lo, s8
	s_or_b32 s7, s7, s8
	s_delay_alu instid0(SALU_CYCLE_1)
	s_and_b32 exec_lo, exec_lo, s7
	s_cbranch_execz .LBB2_231
; %bb.230:                              ;   in Loop: Header=BB2_22 Depth=2
	ds_store_b64 v49, v[3:4]
	ds_store_b32 v50, v1 offset:4096
.LBB2_231:                              ;   in Loop: Header=BB2_22 Depth=2
	s_or_b32 exec_lo, exec_lo, s83
	v_mov_b32_e32 v1, 0
	v_mov_b32_e32 v2, 0
	s_and_saveexec_b32 s8, s5
	s_cbranch_execz .LBB2_235
; %bb.232:                              ;   in Loop: Header=BB2_22 Depth=2
	v_mov_b32_e32 v1, 0
	v_dual_mov_b32 v2, 0 :: v_dual_mov_b32 v3, v9
	v_dual_mov_b32 v4, v10 :: v_dual_mov_b32 v33, v0
	s_mov_b32 s21, 0
.LBB2_233:                              ;   Parent Loop BB2_12 Depth=1
                                        ;     Parent Loop BB2_22 Depth=2
                                        ; =>    This Inner Loop Header: Depth=3
	global_load_b64 v[34:35], v[3:4], off
	v_add_nc_u32_e32 v33, 0x100, v33
	v_add_co_u32 v3, s7, 0x800, v3
	s_delay_alu instid0(VALU_DEP_1) | instskip(NEXT) | instid1(VALU_DEP_3)
	v_add_co_ci_u32_e64 v4, s7, 0, v4, s7
	v_cmp_lt_i32_e32 vcc_lo, s72, v33
	s_or_b32 s21, vcc_lo, s21
	s_waitcnt vmcnt(0)
	v_fma_f64 v[1:2], v[34:35], v[34:35], v[1:2]
	s_and_not1_b32 exec_lo, exec_lo, s21
	s_cbranch_execnz .LBB2_233
; %bb.234:                              ;   in Loop: Header=BB2_22 Depth=2
	s_or_b32 exec_lo, exec_lo, s21
.LBB2_235:                              ;   in Loop: Header=BB2_22 Depth=2
	s_delay_alu instid0(SALU_CYCLE_1)
	s_or_b32 exec_lo, exec_lo, s8
	ds_store_b64 v6, v[1:2] offset:2048
	s_waitcnt lgkmcnt(0)
	s_barrier
	buffer_gl0_inv
	s_and_saveexec_b32 s7, s0
	s_cbranch_execz .LBB2_237
; %bb.236:                              ;   in Loop: Header=BB2_22 Depth=2
	ds_load_b64 v[3:4], v6 offset:3072
	s_waitcnt lgkmcnt(0)
	v_add_f64 v[1:2], v[1:2], v[3:4]
.LBB2_237:                              ;   in Loop: Header=BB2_22 Depth=2
	s_or_b32 exec_lo, exec_lo, s7
	s_barrier
	buffer_gl0_inv
	s_and_saveexec_b32 s7, s0
	s_cbranch_execz .LBB2_239
; %bb.238:                              ;   in Loop: Header=BB2_22 Depth=2
	ds_store_b64 v6, v[1:2] offset:2048
.LBB2_239:                              ;   in Loop: Header=BB2_22 Depth=2
	s_or_b32 exec_lo, exec_lo, s7
	s_waitcnt lgkmcnt(0)
	s_barrier
	buffer_gl0_inv
	s_and_saveexec_b32 s7, s1
	s_cbranch_execz .LBB2_241
; %bb.240:                              ;   in Loop: Header=BB2_22 Depth=2
	ds_load_b64 v[3:4], v6 offset:2560
	s_waitcnt lgkmcnt(0)
	v_add_f64 v[1:2], v[1:2], v[3:4]
.LBB2_241:                              ;   in Loop: Header=BB2_22 Depth=2
	s_or_b32 exec_lo, exec_lo, s7
	s_barrier
	buffer_gl0_inv
	s_and_saveexec_b32 s7, s1
	s_cbranch_execz .LBB2_243
; %bb.242:                              ;   in Loop: Header=BB2_22 Depth=2
	ds_store_b64 v6, v[1:2] offset:2048
.LBB2_243:                              ;   in Loop: Header=BB2_22 Depth=2
	s_or_b32 exec_lo, exec_lo, s7
	s_waitcnt lgkmcnt(0)
	s_barrier
	buffer_gl0_inv
	s_and_saveexec_b32 s7, s3
	s_cbranch_execz .LBB2_245
; %bb.244:                              ;   in Loop: Header=BB2_22 Depth=2
	v_add_nc_u32_e32 v33, 0x800, v6
	ds_load_2addr_b64 v[1:4], v33 offset1:32
	s_waitcnt lgkmcnt(0)
	v_add_f64 v[1:2], v[1:2], v[3:4]
	ds_store_b64 v6, v[1:2] offset:2048
	s_waitcnt lgkmcnt(0)
	buffer_gl1_inv
	buffer_gl0_inv
	ds_load_2addr_b64 v[1:4], v33 offset1:16
	s_waitcnt lgkmcnt(0)
	v_add_f64 v[1:2], v[1:2], v[3:4]
	ds_store_b64 v6, v[1:2] offset:2048
	s_waitcnt lgkmcnt(0)
	buffer_gl1_inv
	buffer_gl0_inv
	;; [unrolled: 7-line block ×4, first 2 shown]
	ds_load_2addr_b64 v[1:4], v33 offset1:2
	s_waitcnt lgkmcnt(0)
	v_add_f64 v[1:2], v[1:2], v[3:4]
	v_add_nc_u32_e32 v3, 0x800, v6
	ds_store_b64 v6, v[1:2] offset:2048
	s_waitcnt lgkmcnt(0)
	buffer_gl1_inv
	buffer_gl0_inv
	ds_load_2addr_b64 v[1:4], v3 offset1:1
	s_waitcnt lgkmcnt(0)
	v_add_f64 v[1:2], v[1:2], v[3:4]
	ds_store_b64 v6, v[1:2] offset:2048
	s_waitcnt lgkmcnt(0)
	buffer_gl1_inv
	buffer_gl0_inv
.LBB2_245:                              ;   in Loop: Header=BB2_22 Depth=2
	s_or_b32 exec_lo, exec_lo, s7
	s_and_saveexec_b32 s7, s2
	s_cbranch_execz .LBB2_247
; %bb.246:                              ;   in Loop: Header=BB2_22 Depth=2
	ds_load_b64 v[1:2], v53 offset:2048
	s_waitcnt lgkmcnt(0)
	v_cmp_gt_f64_e32 vcc_lo, 0x10000000, v[1:2]
	v_cndmask_b32_e64 v3, 0, 1, vcc_lo
	s_and_b32 s8, vcc_lo, exec_lo
	s_cselect_b32 s8, 0xffffff80, 0
	s_delay_alu instid0(VALU_DEP_1) | instskip(NEXT) | instid1(VALU_DEP_1)
	v_lshlrev_b32_e32 v3, 8, v3
	v_ldexp_f64 v[1:2], v[1:2], v3
	s_delay_alu instid0(VALU_DEP_1) | instskip(SKIP_4) | instid1(VALU_DEP_1)
	v_rsq_f64_e32 v[3:4], v[1:2]
	v_cmp_class_f64_e64 vcc_lo, v[1:2], 0x260
	s_waitcnt_depctr 0xfff
	v_mul_f64 v[33:34], v[1:2], v[3:4]
	v_mul_f64 v[3:4], v[3:4], 0.5
	v_fma_f64 v[35:36], -v[3:4], v[33:34], 0.5
	s_delay_alu instid0(VALU_DEP_1) | instskip(SKIP_1) | instid1(VALU_DEP_2)
	v_fma_f64 v[33:34], v[33:34], v[35:36], v[33:34]
	v_fma_f64 v[3:4], v[3:4], v[35:36], v[3:4]
	v_fma_f64 v[35:36], -v[33:34], v[33:34], v[1:2]
	s_delay_alu instid0(VALU_DEP_1) | instskip(NEXT) | instid1(VALU_DEP_1)
	v_fma_f64 v[33:34], v[35:36], v[3:4], v[33:34]
	v_fma_f64 v[35:36], -v[33:34], v[33:34], v[1:2]
	s_delay_alu instid0(VALU_DEP_1) | instskip(NEXT) | instid1(VALU_DEP_1)
	v_fma_f64 v[3:4], v[35:36], v[3:4], v[33:34]
	v_ldexp_f64 v[3:4], v[3:4], s8
	s_delay_alu instid0(VALU_DEP_1)
	v_dual_cndmask_b32 v2, v4, v2 :: v_dual_cndmask_b32 v1, v3, v1
	ds_store_b64 v53, v[1:2] offset:2048
.LBB2_247:                              ;   in Loop: Header=BB2_22 Depth=2
	s_or_b32 exec_lo, exec_lo, s7
	s_waitcnt lgkmcnt(0)
	s_barrier
	buffer_gl0_inv
	ds_load_b32 v1, v53 offset:4096
	s_waitcnt lgkmcnt(0)
	v_ashrrev_i32_e32 v2, 31, v1
	s_delay_alu instid0(VALU_DEP_1) | instskip(NEXT) | instid1(VALU_DEP_1)
	v_lshlrev_b64 v[1:2], 3, v[1:2]
	v_add_co_u32 v1, vcc_lo, s36, v1
	s_delay_alu instid0(VALU_DEP_2)
	v_add_co_ci_u32_e32 v2, vcc_lo, s37, v2, vcc_lo
	global_load_b64 v[3:4], v[1:2], off
	ds_load_b64 v[1:2], v53 offset:2048
	s_waitcnt vmcnt(0) lgkmcnt(0)
	s_barrier
	buffer_gl0_inv
	s_and_saveexec_b32 s8, s5
	s_cbranch_execz .LBB2_250
; %bb.248:                              ;   in Loop: Header=BB2_22 Depth=2
	v_cmp_nle_f64_e32 vcc_lo, 0, v[3:4]
	s_mov_b32 s84, 0
	v_mov_b32_e32 v6, v0
	s_and_b32 s7, vcc_lo, exec_lo
	s_mov_b32 s7, 0xbff00000
	s_delay_alu instid0(SALU_CYCLE_1) | instskip(NEXT) | instid1(SALU_CYCLE_1)
	s_cselect_b32 s85, s7, 0x3ff00000
	v_div_scale_f64 v[3:4], null, v[1:2], v[1:2], s[84:85]
	s_delay_alu instid0(VALU_DEP_1) | instskip(SKIP_2) | instid1(VALU_DEP_1)
	v_rcp_f64_e32 v[33:34], v[3:4]
	s_waitcnt_depctr 0xfff
	v_fma_f64 v[35:36], -v[3:4], v[33:34], 1.0
	v_fma_f64 v[33:34], v[33:34], v[35:36], v[33:34]
	s_delay_alu instid0(VALU_DEP_1) | instskip(NEXT) | instid1(VALU_DEP_1)
	v_fma_f64 v[35:36], -v[3:4], v[33:34], 1.0
	v_fma_f64 v[33:34], v[33:34], v[35:36], v[33:34]
	v_div_scale_f64 v[35:36], vcc_lo, s[84:85], v[1:2], s[84:85]
	s_delay_alu instid0(VALU_DEP_1) | instskip(NEXT) | instid1(VALU_DEP_1)
	v_mul_f64 v[37:38], v[35:36], v[33:34]
	v_fma_f64 v[3:4], -v[3:4], v[37:38], v[35:36]
	s_delay_alu instid0(VALU_DEP_1) | instskip(NEXT) | instid1(VALU_DEP_1)
	v_div_fmas_f64 v[3:4], v[3:4], v[33:34], v[37:38]
	v_div_fixup_f64 v[1:2], v[3:4], v[1:2], s[84:85]
	v_dual_mov_b32 v3, v9 :: v_dual_mov_b32 v4, v10
	.p2align	6
.LBB2_249:                              ;   Parent Loop BB2_12 Depth=1
                                        ;     Parent Loop BB2_22 Depth=2
                                        ; =>    This Inner Loop Header: Depth=3
	global_load_b64 v[33:34], v[3:4], off
	v_add_nc_u32_e32 v6, 0x100, v6
	s_delay_alu instid0(VALU_DEP_1)
	v_cmp_lt_i32_e32 vcc_lo, s72, v6
	s_or_b32 s84, vcc_lo, s84
	s_waitcnt vmcnt(0)
	v_mul_f64 v[33:34], v[1:2], v[33:34]
	global_store_b64 v[3:4], v[33:34], off
	v_add_co_u32 v3, s7, 0x800, v3
	s_delay_alu instid0(VALU_DEP_1)
	v_add_co_ci_u32_e64 v4, s7, 0, v4, s7
	s_and_not1_b32 exec_lo, exec_lo, s84
	s_cbranch_execnz .LBB2_249
.LBB2_250:                              ;   in Loop: Header=BB2_22 Depth=2
	s_or_b32 exec_lo, exec_lo, s8
	s_waitcnt_vscnt null, 0x0
	s_barrier
.LBB2_251:                              ;   in Loop: Header=BB2_22 Depth=2
	s_waitcnt vmcnt(0)
	s_waitcnt_vscnt null, 0x0
	buffer_gl0_inv
	s_and_saveexec_b32 s21, s4
	s_cbranch_execz .LBB2_21
; %bb.252:                              ;   in Loop: Header=BB2_22 Depth=2
	v_dual_mov_b32 v1, v31 :: v_dual_mov_b32 v2, v32
	v_mov_b32_e32 v6, v0
	s_mov_b32 s83, 0
	s_set_inst_prefetch_distance 0x1
	s_branch .LBB2_254
	.p2align	6
.LBB2_253:                              ;   in Loop: Header=BB2_254 Depth=3
	s_or_b32 exec_lo, exec_lo, s7
	v_add_nc_u32_e32 v33, s69, v6
	v_add_nc_u32_e32 v6, 0x100, v6
	v_add_co_u32 v1, vcc_lo, 0x800, v1
	v_add_co_ci_u32_e32 v2, vcc_lo, 0, v2, vcc_lo
	s_delay_alu instid0(VALU_DEP_4) | instskip(NEXT) | instid1(VALU_DEP_4)
	v_ashrrev_i32_e32 v34, 31, v33
	v_cmp_le_i32_e64 s7, s38, v6
	s_delay_alu instid0(VALU_DEP_2) | instskip(NEXT) | instid1(VALU_DEP_2)
	v_lshlrev_b64 v[33:34], 3, v[33:34]
	s_or_b32 s83, s7, s83
	s_delay_alu instid0(VALU_DEP_1) | instskip(NEXT) | instid1(VALU_DEP_1)
	v_add_co_u32 v33, s8, s24, v33
	v_add_co_ci_u32_e64 v34, s8, s60, v34, s8
	s_waitcnt vmcnt(0)
	global_store_b64 v[33:34], v[3:4], off
	s_and_not1_b32 exec_lo, exec_lo, s83
	s_cbranch_execz .LBB2_21
.LBB2_254:                              ;   Parent Loop BB2_12 Depth=1
                                        ;     Parent Loop BB2_22 Depth=2
                                        ; =>    This Inner Loop Header: Depth=3
	s_delay_alu instid0(VALU_DEP_1) | instskip(SKIP_3) | instid1(VALU_DEP_3)
	v_cmp_le_i32_e32 vcc_lo, s68, v6
	v_cmp_gt_i32_e64 s7, s70, v6
	v_mov_b32_e32 v3, 0
	v_mov_b32_e32 v4, 0
	s_and_b32 s8, vcc_lo, s7
	s_delay_alu instid0(SALU_CYCLE_1)
	s_and_saveexec_b32 s7, s8
	s_cbranch_execz .LBB2_253
; %bb.255:                              ;   in Loop: Header=BB2_254 Depth=3
	global_load_b64 v[3:4], v[1:2], off
	s_branch .LBB2_253
.LBB2_256:
	s_and_saveexec_b32 s0, s2
	s_cbranch_execz .LBB2_258
; %bb.257:
	v_mov_b32_e32 v0, 0
	v_readlane_b32 s0, v61, 0
	v_readlane_b32 s1, v61, 1
	ds_load_b32 v1, v0
	s_add_u32 s0, s10, s0
	s_addc_u32 s1, s11, s1
	s_waitcnt lgkmcnt(0)
	global_store_b32 v0, v1, s[0:1]
.LBB2_258:
	s_endpgm
	.section	.rodata,"a",@progbits
	.p2align	6, 0x0
	.amdhsa_kernel _ZN9rocsolver6v33100L12stein_kernelIddPdEEviPT0_lS4_lPiS4_lS5_lS5_lT1_iilS5_lS5_S4_S5_S3_S3_
		.amdhsa_group_segment_fixed_size 8
		.amdhsa_private_segment_fixed_size 0
		.amdhsa_kernarg_size 176
		.amdhsa_user_sgpr_count 14
		.amdhsa_user_sgpr_dispatch_ptr 0
		.amdhsa_user_sgpr_queue_ptr 0
		.amdhsa_user_sgpr_kernarg_segment_ptr 1
		.amdhsa_user_sgpr_dispatch_id 0
		.amdhsa_user_sgpr_private_segment_size 0
		.amdhsa_wavefront_size32 1
		.amdhsa_uses_dynamic_stack 0
		.amdhsa_enable_private_segment 0
		.amdhsa_system_sgpr_workgroup_id_x 1
		.amdhsa_system_sgpr_workgroup_id_y 1
		.amdhsa_system_sgpr_workgroup_id_z 0
		.amdhsa_system_sgpr_workgroup_info 0
		.amdhsa_system_vgpr_workitem_id 0
		.amdhsa_next_free_vgpr 62
		.amdhsa_next_free_sgpr 105
		.amdhsa_reserve_vcc 1
		.amdhsa_float_round_mode_32 0
		.amdhsa_float_round_mode_16_64 0
		.amdhsa_float_denorm_mode_32 3
		.amdhsa_float_denorm_mode_16_64 3
		.amdhsa_dx10_clamp 1
		.amdhsa_ieee_mode 1
		.amdhsa_fp16_overflow 0
		.amdhsa_workgroup_processor_mode 1
		.amdhsa_memory_ordered 1
		.amdhsa_forward_progress 0
		.amdhsa_shared_vgpr_count 0
		.amdhsa_exception_fp_ieee_invalid_op 0
		.amdhsa_exception_fp_denorm_src 0
		.amdhsa_exception_fp_ieee_div_zero 0
		.amdhsa_exception_fp_ieee_overflow 0
		.amdhsa_exception_fp_ieee_underflow 0
		.amdhsa_exception_fp_ieee_inexact 0
		.amdhsa_exception_int_div_zero 0
	.end_amdhsa_kernel
	.section	.text._ZN9rocsolver6v33100L12stein_kernelIddPdEEviPT0_lS4_lPiS4_lS5_lS5_lT1_iilS5_lS5_S4_S5_S3_S3_,"axG",@progbits,_ZN9rocsolver6v33100L12stein_kernelIddPdEEviPT0_lS4_lPiS4_lS5_lS5_lT1_iilS5_lS5_S4_S5_S3_S3_,comdat
.Lfunc_end2:
	.size	_ZN9rocsolver6v33100L12stein_kernelIddPdEEviPT0_lS4_lPiS4_lS5_lS5_lT1_iilS5_lS5_S4_S5_S3_S3_, .Lfunc_end2-_ZN9rocsolver6v33100L12stein_kernelIddPdEEviPT0_lS4_lPiS4_lS5_lS5_lT1_iilS5_lS5_S4_S5_S3_S3_
                                        ; -- End function
	.section	.AMDGPU.csdata,"",@progbits
; Kernel info:
; codeLenInByte = 12076
; NumSgprs: 107
; NumVgprs: 62
; ScratchSize: 0
; MemoryBound: 1
; FloatMode: 240
; IeeeMode: 1
; LDSByteSize: 8 bytes/workgroup (compile time only)
; SGPRBlocks: 13
; VGPRBlocks: 7
; NumSGPRsForWavesPerEU: 107
; NumVGPRsForWavesPerEU: 62
; Occupancy: 16
; WaveLimiterHint : 1
; COMPUTE_PGM_RSRC2:SCRATCH_EN: 0
; COMPUTE_PGM_RSRC2:USER_SGPR: 14
; COMPUTE_PGM_RSRC2:TRAP_HANDLER: 0
; COMPUTE_PGM_RSRC2:TGID_X_EN: 1
; COMPUTE_PGM_RSRC2:TGID_Y_EN: 1
; COMPUTE_PGM_RSRC2:TGID_Z_EN: 0
; COMPUTE_PGM_RSRC2:TIDIG_COMP_CNT: 0
	.section	.text._ZN9rocsolver6v33100L12stein_kernelI19rocblas_complex_numIfEfPS3_EEviPT0_lS6_lPiS6_lS7_lS7_lT1_iilS7_lS7_S6_S7_S5_S5_,"axG",@progbits,_ZN9rocsolver6v33100L12stein_kernelI19rocblas_complex_numIfEfPS3_EEviPT0_lS6_lPiS6_lS7_lS7_lT1_iilS7_lS7_S6_S7_S5_S5_,comdat
	.globl	_ZN9rocsolver6v33100L12stein_kernelI19rocblas_complex_numIfEfPS3_EEviPT0_lS6_lPiS6_lS7_lS7_lT1_iilS7_lS7_S6_S7_S5_S5_ ; -- Begin function _ZN9rocsolver6v33100L12stein_kernelI19rocblas_complex_numIfEfPS3_EEviPT0_lS6_lPiS6_lS7_lS7_lT1_iilS7_lS7_S6_S7_S5_S5_
	.p2align	8
	.type	_ZN9rocsolver6v33100L12stein_kernelI19rocblas_complex_numIfEfPS3_EEviPT0_lS6_lPiS6_lS7_lS7_lT1_iilS7_lS7_S6_S7_S5_S5_,@function
_ZN9rocsolver6v33100L12stein_kernelI19rocblas_complex_numIfEfPS3_EEviPT0_lS6_lPiS6_lS7_lS7_lT1_iilS7_lS7_S6_S7_S5_S5_: ; @_ZN9rocsolver6v33100L12stein_kernelI19rocblas_complex_numIfEfPS3_EEviPT0_lS6_lPiS6_lS7_lS7_lT1_iilS7_lS7_S6_S7_S5_S5_
; %bb.0:
	s_mov_b32 s46, s15
	s_load_b512 s[4:19], s[0:1], 0x8
	s_ashr_i32 s47, s46, 31
	s_delay_alu instid0(SALU_CYCLE_1)
	s_lshl_b64 s[20:21], s[46:47], 2
	s_waitcnt lgkmcnt(0)
	s_add_u32 s2, s12, s20
	s_addc_u32 s3, s13, s21
	s_load_b32 s12, s[2:3], 0x0
	s_waitcnt lgkmcnt(0)
	s_cmp_lt_i32 s12, 1
	s_cbranch_scc1 .LBB3_255
; %bb.1:
	s_clause 0x1
	s_load_b256 s[36:43], s[0:1], 0x70
	s_load_b128 s[28:31], s[0:1], 0x90
	s_mov_b64 s[44:45], 0
	s_waitcnt lgkmcnt(0)
	s_cmp_eq_u64 s[38:39], 0
	s_cbranch_scc1 .LBB3_3
; %bb.2:
	s_mul_i32 s2, s46, s41
	s_mul_hi_u32 s3, s46, s40
	s_mul_i32 s13, s47, s40
	s_add_i32 s2, s3, s2
	s_delay_alu instid0(SALU_CYCLE_1) | instskip(SKIP_1) | instid1(SALU_CYCLE_1)
	s_add_i32 s3, s2, s13
	s_mul_i32 s2, s46, s40
	s_lshl_b64 s[2:3], s[2:3], 2
	s_delay_alu instid0(SALU_CYCLE_1)
	s_add_u32 s44, s38, s2
	s_addc_u32 s45, s39, s3
.LBB3_3:
                                        ; implicit-def: $vgpr44 : SGPR spill to VGPR lane
	v_cmp_eq_u32_e64 s2, 0, v0
	v_writelane_b32 v44, s20, 0
	v_writelane_b32 v44, s21, 1
	s_delay_alu instid0(VALU_DEP_3)
	s_and_saveexec_b32 s3, s2
	s_cbranch_execz .LBB3_5
; %bb.4:
	v_mov_b32_e32 v1, 0
	ds_store_b32 v1, v1
.LBB3_5:
	s_or_b32 exec_lo, exec_lo, s3
	v_cmp_gt_u32_e32 vcc_lo, s12, v0
	s_cmp_lg_u64 s[44:45], 0
	v_lshlrev_b32_e32 v5, 2, v0
	s_cselect_b32 s22, -1, 0
	s_delay_alu instid0(SALU_CYCLE_1) | instskip(NEXT) | instid1(SALU_CYCLE_1)
	s_and_b32 s3, vcc_lo, s22
	s_and_saveexec_b32 s13, s3
	s_cbranch_execz .LBB3_8
; %bb.6:
	v_add_co_u32 v1, s3, s44, v5
	v_dual_mov_b32 v3, 0 :: v_dual_mov_b32 v4, v0
	v_add_co_ci_u32_e64 v2, null, s45, 0, s3
	s_mov_b32 s20, 0
.LBB3_7:                                ; =>This Inner Loop Header: Depth=1
	s_delay_alu instid0(VALU_DEP_2) | instskip(SKIP_2) | instid1(VALU_DEP_1)
	v_add_nc_u32_e32 v4, 0x100, v4
	flat_store_b32 v[1:2], v3
	v_add_co_u32 v1, s3, 0x400, v1
	v_add_co_ci_u32_e64 v2, s3, 0, v2, s3
	v_cmp_le_i32_e32 vcc_lo, s12, v4
	s_or_b32 s20, vcc_lo, s20
	s_delay_alu instid0(SALU_CYCLE_1)
	s_and_not1_b32 exec_lo, exec_lo, s20
	s_cbranch_execnz .LBB3_7
.LBB3_8:
	v_writelane_b32 v44, s36, 2
	v_writelane_b32 v44, s37, 3
	;; [unrolled: 1-line block ×8, first 2 shown]
	s_or_b32 exec_lo, exec_lo, s13
	s_load_b256 s[36:43], s[0:1], 0x48
	s_mov_b32 s23, 0
	v_mov_b32_e32 v2, 0
	s_waitcnt lgkmcnt(0)
	s_mul_i32 s3, s46, s37
	s_mul_hi_u32 s13, s46, s36
	s_mul_i32 s21, s47, s36
	s_add_i32 s3, s13, s3
	s_mul_i32 s20, s46, s36
	s_add_i32 s21, s3, s21
	s_mov_b32 s13, s23
	s_lshl_b64 s[20:21], s[20:21], 2
	s_delay_alu instid0(SALU_CYCLE_1) | instskip(SKIP_2) | instid1(SALU_CYCLE_1)
	s_add_u32 s33, s18, s20
	s_addc_u32 s78, s19, s21
	s_lshl_b64 s[18:19], s[12:13], 2
	s_add_u32 s18, s33, s18
	s_addc_u32 s19, s78, s19
	global_load_b32 v1, v2, s[18:19] offset:-4
	s_waitcnt vmcnt(0)
	v_cmp_gt_i32_e32 vcc_lo, 1, v1
	s_cbranch_vccnz .LBB3_253
; %bb.9:
	s_load_b32 s24, s[0:1], 0x0
	s_mul_i32 s3, s46, s7
	s_mul_hi_u32 s7, s46, s6
	s_mul_i32 s13, s47, s6
	s_add_i32 s3, s7, s3
	s_mul_i32 s6, s46, s6
	s_add_i32 s7, s3, s13
	s_mul_i32 s21, s46, s11
	s_mul_hi_u32 s26, s46, s10
	s_mul_i32 s27, s47, s10
	s_mul_i32 s20, s46, s10
	s_clause 0x1
	s_load_b64 s[10:11], s[0:1], 0x68
	s_load_b64 s[36:37], s[0:1], 0xa0
	s_lshl_b64 s[0:1], s[6:7], 2
	s_mul_i32 s17, s46, s17
	s_mul_hi_u32 s34, s46, s16
	s_mul_i32 s3, s46, s41
	s_mul_i32 s6, s47, s40
	v_readlane_b32 s48, v44, 2
	v_readlane_b32 s49, v44, 3
	v_add3_u32 v25, 8, 0x800, v5
	s_waitcnt lgkmcnt(0)
	s_ashr_i32 s25, s24, 31
	s_add_u32 s13, s4, s0
	s_addc_u32 s79, s5, s1
	s_add_i32 s0, s26, s21
	s_mul_i32 s1, s47, s16
	s_add_i32 s21, s0, s27
	s_mul_i32 s0, s46, s16
	s_lshl_b64 s[4:5], s[20:21], 2
	s_mov_b64 s[20:21], s[48:49]
	s_add_u32 s80, s8, s4
	s_addc_u32 s81, s9, s5
	s_add_i32 s4, s34, s17
	s_mul_hi_u32 s5, s46, s40
	s_add_i32 s1, s4, s1
	s_mul_i32 s4, s46, s40
	s_lshl_b64 s[0:1], s[0:1], 2
	v_div_scale_f32 v3, null, s37, s37, 1.0
	s_add_u32 s82, s14, s0
	s_addc_u32 s83, s15, s1
	s_add_i32 s0, s5, s3
	s_mul_i32 s3, s24, 5
	s_add_i32 s5, s0, s6
	s_mul_hi_i32 s7, s3, s46
	s_lshl_b64 s[0:1], s[4:5], 2
	s_mul_i32 s6, s3, s46
	s_add_u32 s84, s38, s0
	s_addc_u32 s85, s39, s1
	s_lshl_b64 s[0:1], s[6:7], 2
	s_mul_hi_i32 s5, s24, s46
	s_mul_i32 s4, s24, s46
	s_add_u32 s14, s0, s28
	s_addc_u32 s15, s1, s29
	s_lshl_b64 s[0:1], s[4:5], 2
	s_mul_hi_u32 s3, s46, s20
	s_add_u32 s86, s30, s0
	s_mul_i32 s0, s46, s21
	v_rcp_f32_e32 v4, v3
	s_addc_u32 s87, s31, s1
	s_add_i32 s0, s3, s0
	s_mul_i32 s1, s47, s20
	s_ashr_i32 s5, s10, 31
	s_add_i32 s1, s0, s1
	s_mul_i32 s0, s46, s20
	s_mov_b32 s4, s10
	s_lshl_b64 s[0:1], s[0:1], 3
	s_mul_i32 s16, s24, 3
	s_add_u32 s3, s42, s0
	s_addc_u32 s8, s43, s1
	s_lshl_b64 s[0:1], s[4:5], 3
	s_waitcnt_depctr 0xfff
	v_fma_f32 v6, -v3, v4, 1.0
	s_add_u32 s10, s3, s0
	s_addc_u32 s88, s8, s1
	s_ashr_i32 s17, s16, 31
	v_mov_b32_e32 v27, 1.0
	s_lshl_b64 s[0:1], s[16:17], 2
	v_fmac_f32_e32 v4, v6, v4
	v_div_scale_f32 v6, vcc_lo, 1.0, s37, 1.0
	s_add_u32 s20, s14, s0
	s_addc_u32 s21, s15, s1
	s_lshl_b64 s[8:9], s[24:25], 3
	s_delay_alu instid0(VALU_DEP_1)
	v_dual_mul_f32 v7, v6, v4 :: v_dual_add_nc_u32 v24, 8, v5
	s_sub_u32 s30, s20, s8
	s_subb_u32 s31, s21, s9
	s_lshl_b64 s[0:1], s[24:25], 2
	s_mul_i32 s5, s24, -12
	s_add_u32 s38, s30, s0
	s_addc_u32 s39, s31, s1
	s_add_u32 s40, s38, s8
	v_fma_f32 v9, -v3, v7, v6
	s_addc_u32 s41, s39, s9
	s_mul_hi_i32 s4, s24, -12
	s_add_u32 s5, s40, s5
	s_addc_u32 s4, s41, s4
	s_add_u32 s42, s5, 4
	s_addc_u32 s43, s4, 0
	s_and_b32 s25, s2, s22
	v_fmac_f32_e32 v7, v9, v4
	s_add_u32 s89, s84, -4
	s_addc_u32 s90, s85, -1
	s_add_u32 s91, s13, -4
	s_addc_u32 s92, s79, -1
	s_add_u32 s93, s80, -8
	v_fma_f32 v3, -v3, v7, v6
	s_addc_u32 s94, s81, -1
	v_dual_mov_b32 v29, 8 :: v_dual_add_nc_u32 v6, s24, v0
	s_add_u32 s95, s14, -4
	s_addc_u32 s96, s15, -1
	s_add_u32 s97, s80, 4
	s_addc_u32 s98, s81, 0
	v_max_f32_e64 v8, s36, s36
	v_div_fmas_f32 v3, v3, v4, v7
	s_add_u32 s99, s13, 4
	v_ashrrev_i32_e32 v7, 31, v6
	s_addc_u32 s100, s79, 0
	s_add_u32 s101, s14, 4
	s_addc_u32 s102, s15, 0
	s_lshl_b32 s103, s24, 1
	s_add_u32 s46, s20, 8
	v_dual_max_f32 v23, 0, v8 :: v_dual_mov_b32 v28, 1
	v_lshlrev_b64 v[7:8], 2, v[6:7]
	s_addc_u32 s47, s21, 0
	s_add_u32 s6, s6, s16
	v_div_fixup_f32 v26, v3, s37, 1.0
	v_add_co_u32 v3, s5, s14, v5
	s_addc_u32 s7, s7, s17
	v_add_co_ci_u32_e64 v4, null, s15, 0, s5
	v_add_co_u32 v5, s5, s20, v5
	s_lshl_b64 s[6:7], s[6:7], 2
	v_add_co_ci_u32_e64 v6, null, s21, 0, s5
	v_add_co_u32 v7, vcc_lo, s101, v7
	s_sub_u32 s5, s6, s8
	s_subb_u32 s6, s7, s9
	v_cmp_gt_u32_e64 s0, 0x80, v0
	v_cmp_gt_u32_e64 s1, 64, v0
	;; [unrolled: 1-line block ×3, first 2 shown]
	v_cmp_gt_i32_e64 s4, s24, v0
	v_add_co_ci_u32_e32 v8, vcc_lo, s102, v8, vcc_lo
	s_add_u32 s5, s5, s28
	v_readlane_b32 s50, v44, 4
	v_readlane_b32 s51, v44, 5
	s_addc_u32 s6, s6, s29
	v_readlane_b32 s52, v44, 6
	s_add_u32 s28, s5, 8
	s_mov_b32 s48, 0x9999999a
	s_mov_b32 s50, 0xff800000
	;; [unrolled: 1-line block ×4, first 2 shown]
	s_addc_u32 s29, s6, 0
	s_mov_b32 s52, s23
	s_mov_b32 s17, 0
	v_readlane_b32 s53, v44, 7
	v_readlane_b32 s54, v44, 8
	;; [unrolled: 1-line block ×3, first 2 shown]
                                        ; implicit-def: $vgpr30
                                        ; implicit-def: $vgpr33
                                        ; implicit-def: $vgpr34
                                        ; implicit-def: $sgpr104
                                        ; implicit-def: $vgpr31
	s_branch .LBB3_12
.LBB3_10:                               ;   in Loop: Header=BB3_12 Depth=1
	global_load_b32 v1, v2, s[18:19] offset:-4
	s_mov_b32 s17, s7
.LBB3_11:                               ;   in Loop: Header=BB3_12 Depth=1
	s_add_i32 s52, s52, 1
	s_waitcnt vmcnt(0)
	v_cmp_ge_i32_e32 vcc_lo, s52, v1
	s_cbranch_vccnz .LBB3_253
.LBB3_12:                               ; =>This Loop Header: Depth=1
                                        ;     Child Loop BB3_18 Depth 2
                                        ;     Child Loop BB3_23 Depth 2
                                        ;       Child Loop BB3_34 Depth 3
                                        ;       Child Loop BB3_37 Depth 3
	;; [unrolled: 1-line block ×5, first 2 shown]
                                        ;         Child Loop BB3_108 Depth 4
                                        ;         Child Loop BB3_111 Depth 4
	;; [unrolled: 1-line block ×4, first 2 shown]
                                        ;           Child Loop BB3_128 Depth 5
                                        ;         Child Loop BB3_140 Depth 4
                                        ;           Child Loop BB3_141 Depth 5
                                        ;           Child Loop BB3_143 Depth 5
                                        ;         Child Loop BB3_148 Depth 4
                                        ;       Child Loop BB3_191 Depth 3
                                        ;       Child Loop BB3_230 Depth 3
	;; [unrolled: 1-line block ×4, first 2 shown]
	s_cmp_eq_u32 s52, 0
	s_mov_b32 s54, 0
	s_cbranch_scc1 .LBB3_14
; %bb.13:                               ;   in Loop: Header=BB3_12 Depth=1
	s_mov_b32 s53, s23
	s_delay_alu instid0(SALU_CYCLE_1) | instskip(NEXT) | instid1(SALU_CYCLE_1)
	s_lshl_b64 s[6:7], s[52:53], 2
	s_add_u32 s6, s89, s6
	s_addc_u32 s7, s90, s7
	global_load_b32 v9, v2, s[6:7]
	s_mov_b64 s[6:7], s[52:53]
	s_waitcnt vmcnt(0)
	v_readfirstlane_b32 s54, v9
	s_branch .LBB3_15
.LBB3_14:                               ;   in Loop: Header=BB3_12 Depth=1
	s_mov_b64 s[6:7], 0
.LBB3_15:                               ;   in Loop: Header=BB3_12 Depth=1
	s_delay_alu instid0(SALU_CYCLE_1) | instskip(NEXT) | instid1(SALU_CYCLE_1)
	s_lshl_b64 s[6:7], s[6:7], 2
	s_add_u32 s6, s84, s6
	s_addc_u32 s7, s85, s7
	s_not_b32 s5, s54
	global_load_b32 v9, v2, s[6:7]
	s_waitcnt vmcnt(0)
	v_readfirstlane_b32 s56, v9
	v_subrev_nc_u32_e32 v32, s54, v9
	s_delay_alu instid0(VALU_DEP_2) | instskip(NEXT) | instid1(SALU_CYCLE_1)
	s_add_i32 s58, s5, s56
	s_cmp_lt_i32 s58, 1
	s_cselect_b32 s53, -1, 0
	s_delay_alu instid0(SALU_CYCLE_1)
	s_and_b32 vcc_lo, exec_lo, s53
	s_cbranch_vccnz .LBB3_20
; %bb.16:                               ;   in Loop: Header=BB3_12 Depth=1
	s_ashr_i32 s55, s54, 31
	s_delay_alu instid0(SALU_CYCLE_1) | instskip(NEXT) | instid1(SALU_CYCLE_1)
	s_lshl_b64 s[8:9], s[54:55], 2
	s_add_u32 s6, s13, s8
	s_addc_u32 s7, s79, s9
	s_add_u32 s26, s80, s8
	s_addc_u32 s27, s81, s9
	s_ashr_i32 s57, s56, 31
	s_delay_alu instid0(SALU_CYCLE_1) | instskip(NEXT) | instid1(SALU_CYCLE_1)
	s_lshl_b64 s[34:35], s[56:57], 2
	s_add_u32 s60, s91, s34
	s_addc_u32 s61, s92, s35
	s_add_i32 s5, s56, -2
	s_add_u32 s34, s93, s34
	s_addc_u32 s35, s94, s35
	s_clause 0x3
	global_load_b32 v10, v2, s[6:7]
	global_load_b32 v9, v2, s[26:27]
	;; [unrolled: 1-line block ×4, first 2 shown]
	s_cmp_ge_i32 s54, s5
	s_waitcnt vmcnt(2)
	v_add_f32_e64 v10, |v10|, |v9|
	s_waitcnt vmcnt(0)
	v_add_f32_e64 v11, |v11|, |v12|
	s_delay_alu instid0(VALU_DEP_1)
	v_cmp_lt_f32_e32 vcc_lo, v10, v11
	v_cndmask_b32_e32 v31, v10, v11, vcc_lo
	s_cbranch_scc1 .LBB3_19
; %bb.17:                               ;   in Loop: Header=BB3_12 Depth=1
	s_add_u32 s6, s97, s8
	s_addc_u32 s7, s98, s9
	s_add_u32 s8, s99, s8
	s_addc_u32 s9, s100, s9
	s_mov_b32 s22, s54
	.p2align	6
.LBB3_18:                               ;   Parent Loop BB3_12 Depth=1
                                        ; =>  This Inner Loop Header: Depth=2
	global_load_b32 v10, v2, s[8:9]
	s_add_i32 s22, s22, 1
	s_waitcnt vmcnt(0)
	v_add_f32_e64 v10, |v9|, |v10|
	global_load_b32 v9, v2, s[6:7]
	s_add_u32 s6, s6, 4
	s_addc_u32 s7, s7, 0
	s_add_u32 s8, s8, 4
	s_addc_u32 s9, s9, 0
	s_cmp_lt_i32 s22, s5
	s_waitcnt vmcnt(0)
	v_add_f32_e64 v10, v10, |v9|
	s_delay_alu instid0(VALU_DEP_1)
	v_cmp_lt_f32_e32 vcc_lo, v31, v10
	v_cndmask_b32_e32 v31, v31, v10, vcc_lo
	s_cbranch_scc1 .LBB3_18
.LBB3_19:                               ;   in Loop: Header=BB3_12 Depth=1
	v_cvt_f64_u32_e32 v[9:10], v32
	s_mov_b32 s104, s17
	s_delay_alu instid0(VALU_DEP_2) | instskip(NEXT) | instid1(VALU_DEP_2)
	v_mul_f32_e32 v34, 0x3a83126f, v31
	v_div_scale_f64 v[11:12], null, v[9:10], v[9:10], s[48:49]
	v_div_scale_f64 v[17:18], vcc_lo, s[48:49], v[9:10], s[48:49]
	s_delay_alu instid0(VALU_DEP_2) | instskip(SKIP_2) | instid1(VALU_DEP_1)
	v_rcp_f64_e32 v[13:14], v[11:12]
	s_waitcnt_depctr 0xfff
	v_fma_f64 v[15:16], -v[11:12], v[13:14], 1.0
	v_fma_f64 v[13:14], v[13:14], v[15:16], v[13:14]
	s_delay_alu instid0(VALU_DEP_1) | instskip(NEXT) | instid1(VALU_DEP_1)
	v_fma_f64 v[15:16], -v[11:12], v[13:14], 1.0
	v_fma_f64 v[13:14], v[13:14], v[15:16], v[13:14]
	s_delay_alu instid0(VALU_DEP_1) | instskip(NEXT) | instid1(VALU_DEP_1)
	v_mul_f64 v[15:16], v[17:18], v[13:14]
	v_fma_f64 v[11:12], -v[11:12], v[15:16], v[17:18]
	s_delay_alu instid0(VALU_DEP_1) | instskip(NEXT) | instid1(VALU_DEP_1)
	v_div_fmas_f64 v[11:12], v[11:12], v[13:14], v[15:16]
	v_div_fixup_f64 v[9:10], v[11:12], v[9:10], s[48:49]
	s_delay_alu instid0(VALU_DEP_1) | instskip(SKIP_3) | instid1(VALU_DEP_1)
	v_cmp_gt_f64_e32 vcc_lo, 0x10000000, v[9:10]
	v_cndmask_b32_e64 v11, 0, 1, vcc_lo
	s_and_b32 s5, vcc_lo, exec_lo
	s_cselect_b32 s5, 0xffffff80, 0
	v_lshlrev_b32_e32 v11, 8, v11
	s_delay_alu instid0(VALU_DEP_1) | instskip(NEXT) | instid1(VALU_DEP_1)
	v_ldexp_f64 v[9:10], v[9:10], v11
	v_rsq_f64_e32 v[11:12], v[9:10]
	v_cmp_class_f64_e64 vcc_lo, v[9:10], 0x260
	s_waitcnt_depctr 0xfff
	v_mul_f64 v[13:14], v[9:10], v[11:12]
	v_mul_f64 v[11:12], v[11:12], 0.5
	s_delay_alu instid0(VALU_DEP_1) | instskip(NEXT) | instid1(VALU_DEP_1)
	v_fma_f64 v[15:16], -v[11:12], v[13:14], 0.5
	v_fma_f64 v[13:14], v[13:14], v[15:16], v[13:14]
	v_fma_f64 v[11:12], v[11:12], v[15:16], v[11:12]
	s_delay_alu instid0(VALU_DEP_2) | instskip(NEXT) | instid1(VALU_DEP_1)
	v_fma_f64 v[15:16], -v[13:14], v[13:14], v[9:10]
	v_fma_f64 v[13:14], v[15:16], v[11:12], v[13:14]
	s_delay_alu instid0(VALU_DEP_1) | instskip(NEXT) | instid1(VALU_DEP_1)
	v_fma_f64 v[15:16], -v[13:14], v[13:14], v[9:10]
	v_fma_f64 v[11:12], v[15:16], v[11:12], v[13:14]
	s_delay_alu instid0(VALU_DEP_1) | instskip(NEXT) | instid1(VALU_DEP_1)
	v_ldexp_f64 v[11:12], v[11:12], s5
	v_dual_cndmask_b32 v10, v12, v10 :: v_dual_cndmask_b32 v9, v11, v9
	s_delay_alu instid0(VALU_DEP_1)
	v_cvt_f32_f64_e32 v33, v[9:10]
.LBB3_20:                               ;   in Loop: Header=BB3_12 Depth=1
	s_cmp_ge_i32 s17, s12
	s_cbranch_scc1 .LBB3_11
; %bb.21:                               ;   in Loop: Header=BB3_12 Depth=1
	s_ashr_i32 s57, s56, 31
	v_add_nc_u32_e32 v9, s54, v0
	s_lshl_b64 s[6:7], s[56:57], 2
	s_mov_b32 s59, s23
	s_add_u32 s60, s91, s6
	s_addc_u32 s61, s92, s7
	s_add_i32 s6, s58, s16
	v_ashrrev_i32_e32 v10, 31, v9
	s_ashr_i32 s7, s6, 31
	v_cvt_f32_u32_e32 v1, v32
	s_lshl_b64 s[6:7], s[6:7], 2
	v_cmp_ge_i32_e64 s5, s58, v0
	s_add_u32 s62, s14, s6
	s_addc_u32 s63, s15, s7
	s_lshl_b64 s[8:9], s[58:59], 2
	v_lshlrev_b64 v[11:12], 2, v[9:10]
	s_add_u32 s64, s86, s8
	s_addc_u32 s65, s87, s9
	s_add_i32 s59, s58, -1
	s_add_u32 s66, s20, s8
	s_addc_u32 s67, s21, s9
	s_cmp_lg_u32 s58, 1
	v_add_co_u32 v9, vcc_lo, s13, v11
	s_cselect_b32 vcc_hi, -1, 0
	v_add_co_ci_u32_e32 v10, vcc_lo, s79, v12, vcc_lo
	s_ashr_i32 s55, s54, 31
	v_add_co_u32 v11, vcc_lo, s80, v11
	s_lshl_b64 s[8:9], s[54:55], 2
	v_add_co_ci_u32_e32 v12, vcc_lo, s81, v12, vcc_lo
	v_sub_co_u32 v13, vcc_lo, v3, s8
	v_cmp_gt_i32_e64 s6, s58, v0
	v_mul_f32_e32 v35, v31, v1
	v_subrev_co_ci_u32_e32 v14, vcc_lo, s9, v4, vcc_lo
	v_mov_b32_e32 v1, v30
	s_mul_i32 s57, s52, s12
	s_sub_i32 s26, s56, s54
	s_mul_i32 s27, s11, s17
	s_mov_b32 s55, 0
	s_mov_b32 s68, s17
	s_branch .LBB3_23
.LBB3_22:                               ;   in Loop: Header=BB3_23 Depth=2
	s_set_inst_prefetch_distance 0x2
	s_or_b32 exec_lo, exec_lo, s8
	s_add_i32 s68, s68, 1
	s_add_i32 s55, s55, 1
	;; [unrolled: 1-line block ×3, first 2 shown]
	v_mov_b32_e32 v1, v30
	s_cmp_ge_i32 s68, s12
	s_mov_b32 s7, s17
	s_cselect_b32 s8, -1, 0
	s_waitcnt_vscnt null, 0x0
	s_barrier
	buffer_gl0_inv
	s_and_b32 vcc_lo, exec_lo, s8
	s_cbranch_vccnz .LBB3_10
.LBB3_23:                               ;   Parent Loop BB3_12 Depth=1
                                        ; =>  This Loop Header: Depth=2
                                        ;       Child Loop BB3_34 Depth 3
                                        ;       Child Loop BB3_37 Depth 3
                                        ;       Child Loop BB3_43 Depth 3
                                        ;       Child Loop BB3_69 Depth 3
                                        ;       Child Loop BB3_71 Depth 3
                                        ;         Child Loop BB3_108 Depth 4
                                        ;         Child Loop BB3_111 Depth 4
	;; [unrolled: 1-line block ×4, first 2 shown]
                                        ;           Child Loop BB3_128 Depth 5
                                        ;         Child Loop BB3_140 Depth 4
                                        ;           Child Loop BB3_141 Depth 5
                                        ;           Child Loop BB3_143 Depth 5
                                        ;         Child Loop BB3_148 Depth 4
                                        ;       Child Loop BB3_191 Depth 3
                                        ;       Child Loop BB3_230 Depth 3
	;; [unrolled: 1-line block ×4, first 2 shown]
	s_ashr_i32 s69, s68, 31
	s_delay_alu instid0(SALU_CYCLE_1) | instskip(NEXT) | instid1(SALU_CYCLE_1)
	s_lshl_b64 s[8:9], s[68:69], 2
	s_add_u32 s34, s33, s8
	s_addc_u32 s35, s78, s9
	global_load_b32 v15, v2, s[34:35]
	s_waitcnt vmcnt(0)
	v_add_nc_u32_e32 v15, -1, v15
	s_delay_alu instid0(VALU_DEP_1)
	v_cmp_ne_u32_e32 vcc_lo, s52, v15
	s_cbranch_vccnz .LBB3_28
; %bb.24:                               ;   in Loop: Header=BB3_23 Depth=2
	s_add_u32 s8, s82, s8
	s_addc_u32 s9, s83, s9
	s_and_b32 vcc_lo, exec_lo, s53
	global_load_b32 v30, v2, s[8:9]
	s_cbranch_vccz .LBB3_29
; %bb.25:                               ;   in Loop: Header=BB3_23 Depth=2
	s_and_saveexec_b32 s7, s2
	s_cbranch_execz .LBB3_27
; %bb.26:                               ;   in Loop: Header=BB3_23 Depth=2
	global_store_b32 v2, v27, s[14:15]
.LBB3_27:                               ;   in Loop: Header=BB3_23 Depth=2
	s_or_b32 exec_lo, exec_lo, s7
	s_waitcnt vmcnt(0)
	s_waitcnt_vscnt null, 0x0
	s_barrier
	s_branch .LBB3_248
.LBB3_28:                               ;   in Loop: Header=BB3_23 Depth=2
	v_mov_b32_e32 v30, v1
	s_mov_b32 s7, s68
                                        ; implicit-def: $sgpr55
                                        ; implicit-def: $sgpr27
	s_cbranch_execz .LBB3_23
	s_branch .LBB3_10
.LBB3_29:                               ;   in Loop: Header=BB3_23 Depth=2
	s_cbranch_execz .LBB3_248
; %bb.30:                               ;   in Loop: Header=BB3_23 Depth=2
	s_add_i32 s7, s68, s57
	s_delay_alu instid0(SALU_CYCLE_1) | instskip(SKIP_1) | instid1(VALU_DEP_1)
	v_lshl_or_b32 v15, s7, 8, v0
	s_mov_b32 s7, exec_lo
	v_add_nc_u32_e32 v16, 1, v15
	s_delay_alu instid0(VALU_DEP_1) | instskip(NEXT) | instid1(VALU_DEP_1)
	v_mul_hi_i32 v17, 0x40000001, v16
	v_lshrrev_b32_e32 v18, 31, v17
	v_ashrrev_i32_e32 v17, 29, v17
	s_delay_alu instid0(VALU_DEP_1) | instskip(NEXT) | instid1(VALU_DEP_1)
	v_add_nc_u32_e32 v17, v17, v18
	v_mul_lo_u32 v17, 0x7fffffff, v17
	s_delay_alu instid0(VALU_DEP_1) | instskip(NEXT) | instid1(VALU_DEP_1)
	v_sub_nc_u32_e32 v16, v16, v17
	v_max_i32_e32 v17, 1, v16
	s_delay_alu instid0(VALU_DEP_1)
	v_mov_b32_e32 v18, v17
	v_cmpx_ne_u32_e32 0x7ffffffe, v15
; %bb.31:                               ;   in Loop: Header=BB3_23 Depth=2
	v_sub_nc_u32_e32 v15, 0x7ffffffe, v15
	s_delay_alu instid0(VALU_DEP_1) | instskip(NEXT) | instid1(VALU_DEP_1)
	v_mul_hi_i32 v16, 0x4000007d, v15
	v_lshrrev_b32_e32 v18, 31, v16
	v_ashrrev_i32_e32 v16, 29, v16
	s_delay_alu instid0(VALU_DEP_1) | instskip(NEXT) | instid1(VALU_DEP_1)
	v_add_nc_u32_e32 v16, v16, v18
	v_mul_lo_u32 v16, 0x7fffff07, v16
	s_delay_alu instid0(VALU_DEP_1) | instskip(NEXT) | instid1(VALU_DEP_1)
	v_sub_nc_u32_e32 v15, v15, v16
	v_max_i32_e32 v18, 1, v15
; %bb.32:                               ;   in Loop: Header=BB3_23 Depth=2
	s_or_b32 exec_lo, exec_lo, s7
	s_and_saveexec_b32 s8, s5
	s_cbranch_execz .LBB3_35
; %bb.33:                               ;   in Loop: Header=BB3_23 Depth=2
	v_dual_mov_b32 v16, v4 :: v_dual_mov_b32 v15, v3
	v_mov_b32_e32 v19, v0
	s_mov_b32 s9, 0
.LBB3_34:                               ;   Parent Loop BB3_12 Depth=1
                                        ;     Parent Loop BB3_23 Depth=2
                                        ; =>    This Inner Loop Header: Depth=3
	v_mul_hi_i32 v20, 0x5e4789c9, v17
	v_mul_hi_i32 v21, 0x4f7a09cd, v18
	s_delay_alu instid0(VALU_DEP_3) | instskip(NEXT) | instid1(VALU_DEP_3)
	v_add_nc_u32_e32 v19, 0x100, v19
	v_lshrrev_b32_e32 v22, 31, v20
	v_ashrrev_i32_e32 v20, 14, v20
	s_delay_alu instid0(VALU_DEP_4) | instskip(SKIP_1) | instid1(VALU_DEP_3)
	v_lshrrev_b32_e32 v36, 31, v21
	v_ashrrev_i32_e32 v21, 14, v21
	v_add_nc_u32_e32 v20, v20, v22
	s_delay_alu instid0(VALU_DEP_2) | instskip(NEXT) | instid1(VALU_DEP_2)
	v_add_nc_u32_e32 v21, v21, v36
	v_mul_i32_i24_e32 v22, 0xadc8, v20
	s_delay_alu instid0(VALU_DEP_2) | instskip(NEXT) | instid1(VALU_DEP_2)
	v_mul_i32_i24_e32 v36, 0xce26, v21
	v_sub_nc_u32_e32 v17, v17, v22
	s_delay_alu instid0(VALU_DEP_2) | instskip(NEXT) | instid1(VALU_DEP_2)
	v_sub_nc_u32_e32 v18, v18, v36
	v_mul_lo_u32 v17, 0xbc8f, v17
	s_delay_alu instid0(VALU_DEP_2) | instskip(NEXT) | instid1(VALU_DEP_2)
	v_mul_lo_u32 v18, 0x9ef4, v18
	v_mad_i32_i24 v17, 0xfffff2b9, v20, v17
	s_delay_alu instid0(VALU_DEP_2) | instskip(NEXT) | instid1(VALU_DEP_2)
	v_mad_i32_i24 v18, 0xfffff131, v21, v18
	v_ashrrev_i32_e32 v20, 31, v17
	s_delay_alu instid0(VALU_DEP_2) | instskip(NEXT) | instid1(VALU_DEP_2)
	v_ashrrev_i32_e32 v21, 31, v18
	v_and_b32_e32 v20, 0x7fffffff, v20
	s_delay_alu instid0(VALU_DEP_2) | instskip(NEXT) | instid1(VALU_DEP_2)
	v_and_b32_e32 v21, 0x7fffff07, v21
	v_add_nc_u32_e32 v17, v20, v17
	s_delay_alu instid0(VALU_DEP_2) | instskip(NEXT) | instid1(VALU_DEP_1)
	v_add_nc_u32_e32 v18, v21, v18
	v_sub_nc_u32_e32 v20, v17, v18
	s_delay_alu instid0(VALU_DEP_1) | instskip(NEXT) | instid1(VALU_DEP_1)
	v_ashrrev_i32_e32 v21, 31, v20
	v_and_b32_e32 v21, 0x7fffffff, v21
	s_delay_alu instid0(VALU_DEP_1) | instskip(NEXT) | instid1(VALU_DEP_1)
	v_add_nc_u32_e32 v20, v21, v20
	v_cvt_f64_i32_e32 v[20:21], v20
	s_delay_alu instid0(VALU_DEP_1) | instskip(SKIP_1) | instid1(VALU_DEP_2)
	v_div_scale_f64 v[36:37], null, s[50:51], s[50:51], v[20:21]
	v_div_scale_f64 v[42:43], vcc_lo, v[20:21], s[50:51], v[20:21]
	v_rcp_f64_e32 v[38:39], v[36:37]
	s_waitcnt_depctr 0xfff
	v_fma_f64 v[40:41], -v[36:37], v[38:39], 1.0
	s_delay_alu instid0(VALU_DEP_1) | instskip(NEXT) | instid1(VALU_DEP_1)
	v_fma_f64 v[38:39], v[38:39], v[40:41], v[38:39]
	v_fma_f64 v[40:41], -v[36:37], v[38:39], 1.0
	s_delay_alu instid0(VALU_DEP_1) | instskip(NEXT) | instid1(VALU_DEP_1)
	v_fma_f64 v[38:39], v[38:39], v[40:41], v[38:39]
	v_mul_f64 v[40:41], v[42:43], v[38:39]
	s_delay_alu instid0(VALU_DEP_1) | instskip(NEXT) | instid1(VALU_DEP_1)
	v_fma_f64 v[36:37], -v[36:37], v[40:41], v[42:43]
	v_div_fmas_f64 v[36:37], v[36:37], v[38:39], v[40:41]
	v_cmp_lt_i32_e32 vcc_lo, s58, v19
	s_or_b32 s9, vcc_lo, s9
	s_delay_alu instid0(VALU_DEP_2) | instskip(NEXT) | instid1(VALU_DEP_1)
	v_div_fixup_f64 v[20:21], v[36:37], s[50:51], v[20:21]
	v_cvt_f32_f64_e32 v20, v[20:21]
	global_store_b32 v[15:16], v20, off
	v_add_co_u32 v15, s7, 0x400, v15
	s_delay_alu instid0(VALU_DEP_1)
	v_add_co_ci_u32_e64 v16, s7, 0, v16, s7
	s_and_not1_b32 exec_lo, exec_lo, s9
	s_cbranch_execnz .LBB3_34
.LBB3_35:                               ;   in Loop: Header=BB3_23 Depth=2
	s_or_b32 exec_lo, exec_lo, s8
	s_and_saveexec_b32 s8, s6
	s_cbranch_execz .LBB3_38
; %bb.36:                               ;   in Loop: Header=BB3_23 Depth=2
	v_dual_mov_b32 v16, v12 :: v_dual_mov_b32 v15, v11
	v_dual_mov_b32 v18, v10 :: v_dual_mov_b32 v17, v9
	;; [unrolled: 1-line block ×4, first 2 shown]
	v_mov_b32_e32 v36, v0
	s_mov_b32 s9, 0
	s_set_inst_prefetch_distance 0x1
	.p2align	6
.LBB3_37:                               ;   Parent Loop BB3_12 Depth=1
                                        ;     Parent Loop BB3_23 Depth=2
                                        ; =>    This Inner Loop Header: Depth=3
	global_load_b32 v37, v[17:18], off
	v_add_co_u32 v17, vcc_lo, 0x400, v17
	v_add_co_ci_u32_e32 v18, vcc_lo, 0, v18, vcc_lo
	s_waitcnt vmcnt(0)
	global_store_b32 v[21:22], v37, off
	global_load_b32 v39, v[15:16], off
	v_add_nc_u32_e32 v37, s103, v36
	v_add_nc_u32_e32 v36, 0x100, v36
	s_delay_alu instid0(VALU_DEP_2) | instskip(NEXT) | instid1(VALU_DEP_2)
	v_ashrrev_i32_e32 v38, 31, v37
	v_cmp_le_i32_e32 vcc_lo, s58, v36
	s_delay_alu instid0(VALU_DEP_2) | instskip(SKIP_1) | instid1(VALU_DEP_1)
	v_lshlrev_b64 v[37:38], 2, v[37:38]
	s_or_b32 s9, vcc_lo, s9
	v_add_co_u32 v37, s7, s14, v37
	s_delay_alu instid0(VALU_DEP_1) | instskip(SKIP_1) | instid1(VALU_DEP_1)
	v_add_co_ci_u32_e64 v38, s7, s15, v38, s7
	v_add_co_u32 v21, s7, 0x400, v21
	v_add_co_ci_u32_e64 v22, s7, 0, v22, s7
	v_add_co_u32 v15, s7, 0x400, v15
	s_delay_alu instid0(VALU_DEP_1) | instskip(SKIP_4) | instid1(VALU_DEP_1)
	v_add_co_ci_u32_e64 v16, s7, 0, v16, s7
	s_waitcnt vmcnt(0)
	global_store_b32 v[37:38], v39, off
	global_store_b32 v[19:20], v39, off
	v_add_co_u32 v19, s7, 0x400, v19
	v_add_co_ci_u32_e64 v20, s7, 0, v20, s7
	s_and_not1_b32 exec_lo, exec_lo, s9
	s_cbranch_execnz .LBB3_37
.LBB3_38:                               ;   in Loop: Header=BB3_23 Depth=2
	s_set_inst_prefetch_distance 0x2
	s_or_b32 exec_lo, exec_lo, s8
	s_and_saveexec_b32 s7, s2
	s_cbranch_execz .LBB3_40
; %bb.39:                               ;   in Loop: Header=BB3_23 Depth=2
	global_load_b32 v15, v2, s[60:61]
	s_waitcnt vmcnt(0)
	global_store_b32 v2, v15, s[62:63]
.LBB3_40:                               ;   in Loop: Header=BB3_23 Depth=2
	s_or_b32 exec_lo, exec_lo, s7
	s_waitcnt vmcnt(0)
	v_dual_mul_f32 v15, s36, v30 :: v_dual_sub_f32 v16, v30, v1
	s_cmp_eq_u32 s55, 0
	s_waitcnt_vscnt null, 0x0
	s_barrier
	s_delay_alu instid0(VALU_DEP_1)
	v_mul_f32_e64 v17, 0x41200000, |v15|
	v_fma_f32 v15, 0x41200000, |v15|, v1
	buffer_gl0_inv
	v_cmp_lt_f32_e32 vcc_lo, v16, v17
	v_cndmask_b32_e32 v15, v30, v15, vcc_lo
	s_cselect_b32 vcc_lo, -1, 0
	s_cmp_lg_u32 s55, 0
	s_cselect_b32 s69, -1, 0
	s_delay_alu instid0(VALU_DEP_1)
	v_cndmask_b32_e32 v30, v15, v30, vcc_lo
	s_and_saveexec_b32 s7, s2
	s_cbranch_execz .LBB3_67
; %bb.41:                               ;   in Loop: Header=BB3_23 Depth=2
	global_load_b32 v15, v2, s[20:21]
	s_mov_b64 s[8:9], 0
	s_mov_b32 s22, 1
	global_store_b32 v2, v2, s[64:65]
	s_waitcnt vmcnt(0)
	v_sub_f32_e32 v15, v15, v30
	global_store_b32 v2, v15, s[20:21]
	global_load_b32 v16, v2, s[30:31] offset:4
	s_waitcnt vmcnt(0)
	v_add_f32_e64 v15, |v15|, |v16|
	s_branch .LBB3_43
.LBB3_42:                               ;   in Loop: Header=BB3_43 Depth=3
	s_add_u32 s8, s8, 4
	s_addc_u32 s9, s9, 0
	s_add_i32 s22, s22, 1
	s_delay_alu instid0(SALU_CYCLE_1)
	s_cmp_eq_u32 s26, s22
	s_cbranch_scc1 .LBB3_64
.LBB3_43:                               ;   Parent Loop BB3_12 Depth=1
                                        ;     Parent Loop BB3_23 Depth=2
                                        ; =>    This Inner Loop Header: Depth=3
	s_add_i32 s35, s22, -1
	s_add_u32 s72, s20, s8
	s_addc_u32 s73, s21, s9
	s_add_u32 s70, s38, s8
	global_load_b32 v16, v2, s[72:73] offset:4
	s_addc_u32 s71, s39, s9
	s_cmp_lt_i32 s35, s59
	s_cselect_b32 s34, -1, 0
	s_cmp_ge_i32 s35, s59
	s_waitcnt vmcnt(0)
	v_sub_f32_e32 v18, v16, v30
	global_store_b32 v2, v18, s[72:73] offset:4
	global_load_b32 v19, v2, s[70:71]
	s_waitcnt vmcnt(0)
	v_add_f32_e64 v16, |v18|, |v19|
	s_cbranch_scc1 .LBB3_45
; %bb.44:                               ;   in Loop: Header=BB3_43 Depth=3
	s_add_u32 s74, s30, s8
	s_addc_u32 s75, s31, s9
	global_load_b32 v17, v2, s[74:75] offset:8
	s_waitcnt vmcnt(0)
	v_add_f32_e64 v16, v16, |v17|
.LBB3_45:                               ;   in Loop: Header=BB3_43 Depth=3
	global_load_b32 v21, v2, s[72:73]
	v_mov_b32_e32 v17, 0
	s_waitcnt vmcnt(0)
	v_cmp_eq_f32_e32 vcc_lo, 0, v21
	s_cbranch_vccnz .LBB3_47
; %bb.46:                               ;   in Loop: Header=BB3_43 Depth=3
	v_and_b32_e32 v17, 0x7fffffff, v21
	s_delay_alu instid0(VALU_DEP_1) | instskip(NEXT) | instid1(VALU_DEP_1)
	v_div_scale_f32 v20, null, v15, v15, v17
	v_rcp_f32_e32 v22, v20
	s_waitcnt_depctr 0xfff
	v_fma_f32 v36, -v20, v22, 1.0
	s_delay_alu instid0(VALU_DEP_1) | instskip(SKIP_1) | instid1(VALU_DEP_1)
	v_fmac_f32_e32 v22, v36, v22
	v_div_scale_f32 v17, vcc_lo, v17, v15, v17
	v_mul_f32_e32 v36, v17, v22
	s_delay_alu instid0(VALU_DEP_1) | instskip(NEXT) | instid1(VALU_DEP_1)
	v_fma_f32 v37, -v20, v36, v17
	v_fmac_f32_e32 v36, v37, v22
	s_delay_alu instid0(VALU_DEP_1) | instskip(NEXT) | instid1(VALU_DEP_1)
	v_fma_f32 v17, -v20, v36, v17
	v_div_fmas_f32 v17, v17, v22, v36
	s_delay_alu instid0(VALU_DEP_1)
	v_div_fixup_f32 v17, v17, v15, |v21|
.LBB3_47:                               ;   in Loop: Header=BB3_43 Depth=3
	v_cmp_neq_f32_e32 vcc_lo, 0, v19
	s_cbranch_vccz .LBB3_52
; %bb.48:                               ;   in Loop: Header=BB3_43 Depth=3
	v_and_b32_e32 v20, 0x7fffffff, v19
	s_add_u32 s74, s86, s8
	s_addc_u32 s75, s87, s9
	s_delay_alu instid0(VALU_DEP_1) | instskip(SKIP_1) | instid1(VALU_DEP_2)
	v_div_scale_f32 v22, null, v16, v16, v20
	v_div_scale_f32 v20, vcc_lo, v20, v16, v20
	v_rcp_f32_e32 v36, v22
	s_waitcnt_depctr 0xfff
	v_fma_f32 v37, -v22, v36, 1.0
	s_delay_alu instid0(VALU_DEP_1) | instskip(NEXT) | instid1(VALU_DEP_1)
	v_fmac_f32_e32 v36, v37, v36
	v_mul_f32_e32 v37, v20, v36
	s_delay_alu instid0(VALU_DEP_1) | instskip(NEXT) | instid1(VALU_DEP_1)
	v_fma_f32 v38, -v22, v37, v20
	v_fmac_f32_e32 v37, v38, v36
	s_delay_alu instid0(VALU_DEP_1) | instskip(NEXT) | instid1(VALU_DEP_1)
	v_fma_f32 v20, -v22, v37, v20
	v_div_fmas_f32 v20, v20, v36, v37
	s_delay_alu instid0(VALU_DEP_1) | instskip(NEXT) | instid1(VALU_DEP_1)
	v_div_fixup_f32 v20, v20, v16, |v19|
	v_cmp_nle_f32_e32 vcc_lo, v20, v17
	s_cbranch_vccnz .LBB3_53
; %bb.49:                               ;   in Loop: Header=BB3_43 Depth=3
	v_div_scale_f32 v22, null, v21, v21, v19
	v_div_scale_f32 v38, vcc_lo, v19, v21, v19
	s_add_u32 s76, s30, s8
	s_delay_alu instid0(VALU_DEP_2) | instskip(SKIP_3) | instid1(VALU_DEP_1)
	v_rcp_f32_e32 v36, v22
	s_addc_u32 s77, s31, s9
	s_waitcnt_depctr 0xfff
	v_fma_f32 v37, -v22, v36, 1.0
	v_fmac_f32_e32 v36, v37, v36
	s_delay_alu instid0(VALU_DEP_1) | instskip(NEXT) | instid1(VALU_DEP_1)
	v_mul_f32_e32 v37, v38, v36
	v_fma_f32 v39, -v22, v37, v38
	s_delay_alu instid0(VALU_DEP_1) | instskip(NEXT) | instid1(VALU_DEP_1)
	v_fmac_f32_e32 v37, v39, v36
	v_fma_f32 v22, -v22, v37, v38
	s_delay_alu instid0(VALU_DEP_1) | instskip(SKIP_1) | instid1(VALU_DEP_1)
	v_div_fmas_f32 v22, v22, v36, v37
	s_and_not1_b32 vcc_lo, exec_lo, s34
	v_div_fixup_f32 v22, v22, v21, v19
	global_store_b32 v2, v22, s[70:71]
	s_clause 0x1
	global_load_b32 v36, v2, s[72:73] offset:4
	global_load_b32 v37, v2, s[76:77] offset:4
	s_waitcnt vmcnt(0)
	v_fma_f32 v22, -v22, v37, v36
	s_clause 0x1
	global_store_b32 v2, v2, s[74:75]
	global_store_b32 v2, v22, s[72:73] offset:4
	s_cbranch_vccnz .LBB3_51
; %bb.50:                               ;   in Loop: Header=BB3_43 Depth=3
	s_add_u32 s76, s40, s8
	s_addc_u32 s77, s41, s9
	global_store_b32 v2, v2, s[76:77]
.LBB3_51:                               ;   in Loop: Header=BB3_43 Depth=3
	v_mov_b32_e32 v22, v16
	s_cbranch_execz .LBB3_54
	s_branch .LBB3_57
.LBB3_52:                               ;   in Loop: Header=BB3_43 Depth=3
                                        ; implicit-def: $vgpr20
                                        ; implicit-def: $vgpr15
	s_branch .LBB3_58
.LBB3_53:                               ;   in Loop: Header=BB3_43 Depth=3
	v_mov_b32_e32 v22, v16
.LBB3_54:                               ;   in Loop: Header=BB3_43 Depth=3
	s_add_u32 s76, s30, s8
	s_addc_u32 s77, s31, s9
	global_store_b32 v2, v19, s[72:73]
	global_load_b32 v22, v2, s[76:77] offset:4
	v_div_scale_f32 v36, null, v19, v19, v21
	s_delay_alu instid0(VALU_DEP_1) | instskip(SKIP_2) | instid1(VALU_DEP_1)
	v_rcp_f32_e32 v37, v36
	s_waitcnt_depctr 0xfff
	v_fma_f32 v38, -v36, v37, 1.0
	v_fmac_f32_e32 v37, v38, v37
	v_div_scale_f32 v38, vcc_lo, v21, v19, v21
	s_delay_alu instid0(VALU_DEP_1) | instskip(NEXT) | instid1(VALU_DEP_1)
	v_mul_f32_e32 v39, v38, v37
	v_fma_f32 v40, -v36, v39, v38
	s_delay_alu instid0(VALU_DEP_1) | instskip(NEXT) | instid1(VALU_DEP_1)
	v_fmac_f32_e32 v39, v40, v37
	v_fma_f32 v36, -v36, v39, v38
	s_delay_alu instid0(VALU_DEP_1) | instskip(SKIP_1) | instid1(VALU_DEP_1)
	v_div_fmas_f32 v36, v36, v37, v39
	s_and_not1_b32 vcc_lo, exec_lo, s34
	v_div_fixup_f32 v19, v36, v19, v21
	s_waitcnt vmcnt(0)
	s_delay_alu instid0(VALU_DEP_1)
	v_fma_f32 v21, -v18, v19, v22
	s_clause 0x1
	global_store_b32 v2, v28, s[74:75]
	global_store_b32 v2, v21, s[72:73] offset:4
	s_cbranch_vccnz .LBB3_56
; %bb.55:                               ;   in Loop: Header=BB3_43 Depth=3
	global_load_b32 v21, v2, s[76:77] offset:8
	s_add_u32 s72, s40, s8
	s_addc_u32 s73, s41, s9
	s_waitcnt vmcnt(0)
	v_mul_f32_e64 v22, v21, -v19
	s_clause 0x1
	global_store_b32 v2, v21, s[72:73]
	global_store_b32 v2, v22, s[76:77] offset:8
.LBB3_56:                               ;   in Loop: Header=BB3_43 Depth=3
	v_mov_b32_e32 v22, v15
	s_clause 0x1
	global_store_b32 v2, v18, s[76:77] offset:4
	global_store_b32 v2, v19, s[70:71]
.LBB3_57:                               ;   in Loop: Header=BB3_43 Depth=3
	s_delay_alu instid0(VALU_DEP_1)
	v_mov_b32_e32 v15, v22
	s_cbranch_execnz .LBB3_61
.LBB3_58:                               ;   in Loop: Header=BB3_43 Depth=3
	s_add_u32 s70, s86, s8
	s_addc_u32 s71, s87, s9
	s_and_not1_b32 vcc_lo, exec_lo, s34
	global_store_b32 v2, v2, s[70:71]
	s_cbranch_vccnz .LBB3_60
; %bb.59:                               ;   in Loop: Header=BB3_43 Depth=3
	s_add_u32 s34, s40, s8
	s_addc_u32 s35, s41, s9
	global_store_b32 v2, v2, s[34:35]
.LBB3_60:                               ;   in Loop: Header=BB3_43 Depth=3
	v_dual_mov_b32 v20, 0 :: v_dual_mov_b32 v15, v16
.LBB3_61:                               ;   in Loop: Header=BB3_43 Depth=3
	s_delay_alu instid0(VALU_DEP_1) | instskip(NEXT) | instid1(VALU_DEP_1)
	v_dual_max_f32 v16, v20, v20 :: v_dual_max_f32 v17, v17, v17
	v_max_f32_e32 v16, v17, v16
	s_delay_alu instid0(VALU_DEP_1)
	v_cmp_nle_f32_e32 vcc_lo, v16, v23
	s_cbranch_vccnz .LBB3_42
; %bb.62:                               ;   in Loop: Header=BB3_43 Depth=3
	global_load_b32 v16, v2, s[64:65]
	s_waitcnt vmcnt(0)
	v_cmp_ne_u32_e32 vcc_lo, 0, v16
	s_cbranch_vccnz .LBB3_42
; %bb.63:                               ;   in Loop: Header=BB3_43 Depth=3
	v_mov_b32_e32 v16, s22
	global_store_b32 v2, v16, s[64:65]
	s_branch .LBB3_42
.LBB3_64:                               ;   in Loop: Header=BB3_23 Depth=2
	global_load_b32 v16, v2, s[66:67]
	v_mul_f32_e32 v15, v23, v15
	s_waitcnt vmcnt(0)
	s_delay_alu instid0(VALU_DEP_1) | instskip(NEXT) | instid1(VALU_DEP_1)
	v_cmp_le_f32_e64 s8, |v16|, v15
	s_and_b32 vcc_lo, exec_lo, s8
	s_cbranch_vccz .LBB3_67
; %bb.65:                               ;   in Loop: Header=BB3_23 Depth=2
	global_load_b32 v15, v2, s[64:65]
	s_waitcnt vmcnt(0)
	v_cmp_ne_u32_e32 vcc_lo, 0, v15
	s_cbranch_vccnz .LBB3_67
; %bb.66:                               ;   in Loop: Header=BB3_23 Depth=2
	global_store_b32 v2, v32, s[64:65]
.LBB3_67:                               ;   in Loop: Header=BB3_23 Depth=2
	s_or_b32 exec_lo, exec_lo, s7
	s_delay_alu instid0(VALU_DEP_1) | instskip(SKIP_2) | instid1(VALU_DEP_1)
	v_sub_f32_e32 v1, v30, v1
	s_mov_b32 s77, 0
	s_mov_b32 s34, 0
	v_cmp_gt_f32_e64 s76, |v1|, v34
	v_bfrev_b32_e32 v17, -2
	v_mov_b32_e32 v1, 0
	s_and_saveexec_b32 s8, s5
	s_cbranch_execz .LBB3_71
.LBB3_68:                               ;   in Loop: Header=BB3_23 Depth=2
	v_dual_mov_b32 v1, 0 :: v_dual_mov_b32 v16, v4
	v_bfrev_b32_e32 v17, -2
	v_dual_mov_b32 v15, v3 :: v_dual_mov_b32 v18, v0
	s_mov_b32 s9, 0
	.p2align	6
.LBB3_69:                               ;   Parent Loop BB3_12 Depth=1
                                        ;     Parent Loop BB3_23 Depth=2
                                        ; =>    This Inner Loop Header: Depth=3
	global_load_b32 v19, v[15:16], off
	v_cmp_eq_u32_e32 vcc_lo, 0x7fffffff, v17
	v_add_nc_u32_e32 v20, 1, v18
	v_add_co_u32 v15, s7, 0x400, v15
	s_delay_alu instid0(VALU_DEP_1) | instskip(SKIP_2) | instid1(VALU_DEP_1)
	v_add_co_ci_u32_e64 v16, s7, 0, v16, s7
	s_waitcnt vmcnt(0)
	v_cmp_lt_f32_e64 s22, v1, |v19|
	s_or_b32 vcc_lo, s22, vcc_lo
	v_dual_cndmask_b32 v17, v17, v20 :: v_dual_add_nc_u32 v18, 0x100, v18
	v_cndmask_b32_e64 v1, v1, |v19|, vcc_lo
	s_delay_alu instid0(VALU_DEP_2) | instskip(NEXT) | instid1(VALU_DEP_1)
	v_cmp_lt_i32_e64 s7, s58, v18
	s_or_b32 s9, s7, s9
	s_delay_alu instid0(SALU_CYCLE_1)
	s_and_not1_b32 exec_lo, exec_lo, s9
	s_cbranch_execnz .LBB3_69
; %bb.70:                               ;   in Loop: Header=BB3_23 Depth=2
	s_or_b32 exec_lo, exec_lo, s9
.LBB3_71:                               ;   Parent Loop BB3_12 Depth=1
                                        ;     Parent Loop BB3_23 Depth=2
                                        ; =>    This Loop Header: Depth=3
                                        ;         Child Loop BB3_108 Depth 4
                                        ;         Child Loop BB3_111 Depth 4
	;; [unrolled: 1-line block ×4, first 2 shown]
                                        ;           Child Loop BB3_128 Depth 5
                                        ;         Child Loop BB3_140 Depth 4
                                        ;           Child Loop BB3_141 Depth 5
                                        ;           Child Loop BB3_143 Depth 5
                                        ;         Child Loop BB3_148 Depth 4
	s_delay_alu instid0(SALU_CYCLE_1)
	s_or_b32 exec_lo, exec_lo, s8
	ds_store_2addr_stride64_b32 v24, v1, v17 offset1:8
	s_waitcnt lgkmcnt(0)
	s_waitcnt_vscnt null, 0x0
	s_barrier
	buffer_gl0_inv
	s_and_saveexec_b32 s8, s0
	s_cbranch_execz .LBB3_77
; %bb.72:                               ;   in Loop: Header=BB3_71 Depth=3
	ds_load_b32 v15, v24 offset:512
	ds_load_b32 v16, v25 offset:512
	s_mov_b32 s22, exec_lo
	s_waitcnt lgkmcnt(1)
	v_cmp_lt_f32_e64 s9, v1, v15
	v_cmpx_nlt_f32_e32 v1, v15
	s_cbranch_execz .LBB3_74
; %bb.73:                               ;   in Loop: Header=BB3_71 Depth=3
	v_cmp_eq_f32_e32 vcc_lo, v1, v15
	s_waitcnt lgkmcnt(0)
	v_cmp_gt_i32_e64 s7, v17, v16
	s_and_not1_b32 s9, s9, exec_lo
	s_delay_alu instid0(VALU_DEP_1) | instskip(NEXT) | instid1(SALU_CYCLE_1)
	s_and_b32 s7, vcc_lo, s7
	s_and_b32 s7, s7, exec_lo
	s_delay_alu instid0(SALU_CYCLE_1)
	s_or_b32 s9, s9, s7
.LBB3_74:                               ;   in Loop: Header=BB3_71 Depth=3
	s_or_b32 exec_lo, exec_lo, s22
	s_delay_alu instid0(VALU_DEP_2)
	s_and_saveexec_b32 s7, s9
	s_cbranch_execz .LBB3_76
; %bb.75:                               ;   in Loop: Header=BB3_71 Depth=3
	s_waitcnt lgkmcnt(0)
	v_mov_b32_e32 v17, v16
	v_mov_b32_e32 v1, v15
	ds_store_2addr_stride64_b32 v24, v15, v16 offset1:8
.LBB3_76:                               ;   in Loop: Header=BB3_71 Depth=3
	s_or_b32 exec_lo, exec_lo, s7
.LBB3_77:                               ;   in Loop: Header=BB3_71 Depth=3
	s_delay_alu instid0(SALU_CYCLE_1)
	s_or_b32 exec_lo, exec_lo, s8
	s_waitcnt lgkmcnt(0)
	s_barrier
	buffer_gl0_inv
	s_and_saveexec_b32 s8, s1
	s_cbranch_execz .LBB3_83
; %bb.78:                               ;   in Loop: Header=BB3_71 Depth=3
	ds_load_b32 v15, v24 offset:256
	ds_load_b32 v16, v25 offset:256
	s_mov_b32 s22, exec_lo
	s_waitcnt lgkmcnt(1)
	v_cmp_lt_f32_e64 s9, v1, v15
	v_cmpx_nlt_f32_e32 v1, v15
	s_cbranch_execz .LBB3_80
; %bb.79:                               ;   in Loop: Header=BB3_71 Depth=3
	v_cmp_eq_f32_e32 vcc_lo, v1, v15
	s_waitcnt lgkmcnt(0)
	v_cmp_gt_i32_e64 s7, v17, v16
	s_and_not1_b32 s9, s9, exec_lo
	s_delay_alu instid0(VALU_DEP_1) | instskip(NEXT) | instid1(SALU_CYCLE_1)
	s_and_b32 s7, vcc_lo, s7
	s_and_b32 s7, s7, exec_lo
	s_delay_alu instid0(SALU_CYCLE_1)
	s_or_b32 s9, s9, s7
.LBB3_80:                               ;   in Loop: Header=BB3_71 Depth=3
	s_or_b32 exec_lo, exec_lo, s22
	s_delay_alu instid0(VALU_DEP_2)
	s_and_saveexec_b32 s7, s9
	s_cbranch_execz .LBB3_82
; %bb.81:                               ;   in Loop: Header=BB3_71 Depth=3
	s_waitcnt lgkmcnt(0)
	v_mov_b32_e32 v17, v16
	v_mov_b32_e32 v1, v15
	ds_store_2addr_stride64_b32 v24, v15, v16 offset1:8
.LBB3_82:                               ;   in Loop: Header=BB3_71 Depth=3
	s_or_b32 exec_lo, exec_lo, s7
.LBB3_83:                               ;   in Loop: Header=BB3_71 Depth=3
	s_delay_alu instid0(SALU_CYCLE_1)
	s_or_b32 exec_lo, exec_lo, s8
	s_waitcnt lgkmcnt(0)
	s_barrier
	buffer_gl0_inv
	s_and_saveexec_b32 s9, s3
	s_cbranch_execz .LBB3_106
; %bb.84:                               ;   in Loop: Header=BB3_71 Depth=3
	ds_load_b32 v15, v24 offset:128
	ds_load_b32 v16, v25 offset:128
	s_mov_b32 s22, exec_lo
	s_waitcnt lgkmcnt(1)
	v_cmp_lt_f32_e64 s8, v1, v15
	v_cmpx_nlt_f32_e32 v1, v15
	s_cbranch_execz .LBB3_86
; %bb.85:                               ;   in Loop: Header=BB3_71 Depth=3
	v_cmp_eq_f32_e32 vcc_lo, v1, v15
	s_waitcnt lgkmcnt(0)
	v_cmp_gt_i32_e64 s7, v17, v16
	s_and_not1_b32 s8, s8, exec_lo
	s_delay_alu instid0(VALU_DEP_1) | instskip(NEXT) | instid1(SALU_CYCLE_1)
	s_and_b32 s7, vcc_lo, s7
	s_and_b32 s7, s7, exec_lo
	s_delay_alu instid0(SALU_CYCLE_1)
	s_or_b32 s8, s8, s7
.LBB3_86:                               ;   in Loop: Header=BB3_71 Depth=3
	s_or_b32 exec_lo, exec_lo, s22
	s_delay_alu instid0(VALU_DEP_2)
	s_and_saveexec_b32 s7, s8
	s_cbranch_execz .LBB3_88
; %bb.87:                               ;   in Loop: Header=BB3_71 Depth=3
	v_mov_b32_e32 v1, v15
	s_waitcnt lgkmcnt(0)
	v_mov_b32_e32 v17, v16
	ds_store_2addr_stride64_b32 v24, v15, v16 offset1:8
.LBB3_88:                               ;   in Loop: Header=BB3_71 Depth=3
	s_or_b32 exec_lo, exec_lo, s7
	ds_load_b32 v15, v24 offset:64
	s_waitcnt lgkmcnt(1)
	ds_load_b32 v16, v25 offset:64
	s_mov_b32 s22, exec_lo
	s_waitcnt lgkmcnt(1)
	v_cmp_lt_f32_e64 s8, v1, v15
	v_cmpx_nlt_f32_e32 v1, v15
	s_cbranch_execz .LBB3_90
; %bb.89:                               ;   in Loop: Header=BB3_71 Depth=3
	v_cmp_eq_f32_e32 vcc_lo, v1, v15
	s_waitcnt lgkmcnt(0)
	v_cmp_gt_i32_e64 s7, v17, v16
	s_and_not1_b32 s8, s8, exec_lo
	s_delay_alu instid0(VALU_DEP_1) | instskip(NEXT) | instid1(SALU_CYCLE_1)
	s_and_b32 s7, vcc_lo, s7
	s_and_b32 s7, s7, exec_lo
	s_delay_alu instid0(SALU_CYCLE_1)
	s_or_b32 s8, s8, s7
.LBB3_90:                               ;   in Loop: Header=BB3_71 Depth=3
	s_or_b32 exec_lo, exec_lo, s22
	s_delay_alu instid0(VALU_DEP_2)
	s_and_saveexec_b32 s7, s8
	s_cbranch_execz .LBB3_92
; %bb.91:                               ;   in Loop: Header=BB3_71 Depth=3
	v_mov_b32_e32 v1, v15
	s_waitcnt lgkmcnt(0)
	v_mov_b32_e32 v17, v16
	ds_store_2addr_stride64_b32 v24, v15, v16 offset1:8
.LBB3_92:                               ;   in Loop: Header=BB3_71 Depth=3
	s_or_b32 exec_lo, exec_lo, s7
	ds_load_b32 v15, v24 offset:32
	s_waitcnt lgkmcnt(1)
	;; [unrolled: 30-line block ×3, first 2 shown]
	ds_load_b32 v16, v25 offset:16
	s_mov_b32 s22, exec_lo
	s_waitcnt lgkmcnt(1)
	v_cmp_lt_f32_e64 s8, v1, v15
	v_cmpx_nlt_f32_e32 v1, v15
	s_cbranch_execz .LBB3_98
; %bb.97:                               ;   in Loop: Header=BB3_71 Depth=3
	v_cmp_eq_f32_e32 vcc_lo, v1, v15
	s_waitcnt lgkmcnt(0)
	v_cmp_gt_i32_e64 s7, v17, v16
	s_and_not1_b32 s8, s8, exec_lo
	s_delay_alu instid0(VALU_DEP_1) | instskip(NEXT) | instid1(SALU_CYCLE_1)
	s_and_b32 s7, vcc_lo, s7
	s_and_b32 s7, s7, exec_lo
	s_delay_alu instid0(SALU_CYCLE_1)
	s_or_b32 s8, s8, s7
.LBB3_98:                               ;   in Loop: Header=BB3_71 Depth=3
	s_or_b32 exec_lo, exec_lo, s22
	s_delay_alu instid0(VALU_DEP_2)
	s_and_saveexec_b32 s7, s8
	s_cbranch_execz .LBB3_100
; %bb.99:                               ;   in Loop: Header=BB3_71 Depth=3
	v_mov_b32_e32 v1, v15
	s_waitcnt lgkmcnt(0)
	v_mov_b32_e32 v17, v16
	ds_store_2addr_stride64_b32 v24, v15, v16 offset1:8
.LBB3_100:                              ;   in Loop: Header=BB3_71 Depth=3
	s_or_b32 exec_lo, exec_lo, s7
	ds_load_b32 v15, v24 offset:8
	s_waitcnt lgkmcnt(1)
	ds_load_b32 v16, v25 offset:8
	s_mov_b32 s22, exec_lo
	s_waitcnt lgkmcnt(1)
	v_cmp_lt_f32_e64 s8, v1, v15
	v_cmpx_nlt_f32_e32 v1, v15
	s_cbranch_execz .LBB3_102
; %bb.101:                              ;   in Loop: Header=BB3_71 Depth=3
	v_cmp_eq_f32_e32 vcc_lo, v1, v15
	s_waitcnt lgkmcnt(0)
	v_cmp_gt_i32_e64 s7, v17, v16
	s_and_not1_b32 s8, s8, exec_lo
	s_delay_alu instid0(VALU_DEP_1) | instskip(NEXT) | instid1(SALU_CYCLE_1)
	s_and_b32 s7, vcc_lo, s7
	s_and_b32 s7, s7, exec_lo
	s_delay_alu instid0(SALU_CYCLE_1)
	s_or_b32 s8, s8, s7
.LBB3_102:                              ;   in Loop: Header=BB3_71 Depth=3
	s_or_b32 exec_lo, exec_lo, s22
	s_delay_alu instid0(VALU_DEP_2)
	s_and_saveexec_b32 s7, s8
	s_cbranch_execz .LBB3_104
; %bb.103:                              ;   in Loop: Header=BB3_71 Depth=3
	v_mov_b32_e32 v1, v15
	s_waitcnt lgkmcnt(0)
	v_mov_b32_e32 v17, v16
	ds_store_2addr_stride64_b32 v24, v15, v16 offset1:8
.LBB3_104:                              ;   in Loop: Header=BB3_71 Depth=3
	s_or_b32 exec_lo, exec_lo, s7
	ds_load_b32 v15, v24 offset:4
	s_waitcnt lgkmcnt(1)
	ds_load_b32 v16, v25 offset:4
	s_waitcnt lgkmcnt(1)
	v_cmp_eq_f32_e32 vcc_lo, v1, v15
	s_waitcnt lgkmcnt(0)
	v_cmp_gt_i32_e64 s7, v17, v16
	v_cmp_lt_f32_e64 s8, v1, v15
	s_delay_alu instid0(VALU_DEP_2)
	s_and_b32 s7, vcc_lo, s7
	s_delay_alu instid0(VALU_DEP_1) | instid1(SALU_CYCLE_1)
	s_or_b32 s7, s8, s7
	s_delay_alu instid0(SALU_CYCLE_1)
	s_and_b32 exec_lo, exec_lo, s7
	s_cbranch_execz .LBB3_106
; %bb.105:                              ;   in Loop: Header=BB3_71 Depth=3
	ds_store_2addr_stride64_b32 v24, v15, v16 offset1:8
.LBB3_106:                              ;   in Loop: Header=BB3_71 Depth=3
	s_or_b32 exec_lo, exec_lo, s9
	s_waitcnt lgkmcnt(0)
	s_barrier
	buffer_gl0_inv
	s_and_saveexec_b32 s8, s5
	s_cbranch_execz .LBB3_109
; %bb.107:                              ;   in Loop: Header=BB3_71 Depth=3
	global_load_b32 v1, v2, s[62:63]
	ds_load_b32 v17, v29
	s_mov_b32 s9, 0
	s_waitcnt vmcnt(0)
	v_cmp_gt_f32_e64 s7, |v1|, s36
	s_delay_alu instid0(VALU_DEP_1) | instskip(NEXT) | instid1(VALU_DEP_1)
	v_cndmask_b32_e64 v1, s36, |v1|, s7
	v_mul_f32_e32 v1, v35, v1
	s_waitcnt lgkmcnt(0)
	s_delay_alu instid0(VALU_DEP_1) | instskip(NEXT) | instid1(VALU_DEP_1)
	v_div_scale_f32 v15, null, v17, v17, v1
	v_rcp_f32_e32 v16, v15
	s_waitcnt_depctr 0xfff
	v_fma_f32 v18, -v15, v16, 1.0
	s_delay_alu instid0(VALU_DEP_1) | instskip(SKIP_1) | instid1(VALU_DEP_1)
	v_fmac_f32_e32 v16, v18, v16
	v_div_scale_f32 v19, vcc_lo, v1, v17, v1
	v_mul_f32_e32 v18, v19, v16
	s_delay_alu instid0(VALU_DEP_1) | instskip(NEXT) | instid1(VALU_DEP_1)
	v_fma_f32 v20, -v15, v18, v19
	v_fmac_f32_e32 v18, v20, v16
	s_delay_alu instid0(VALU_DEP_1) | instskip(NEXT) | instid1(VALU_DEP_1)
	v_fma_f32 v15, -v15, v18, v19
	v_div_fmas_f32 v18, v15, v16, v18
	v_dual_mov_b32 v16, v4 :: v_dual_mov_b32 v15, v3
	s_delay_alu instid0(VALU_DEP_2)
	v_div_fixup_f32 v1, v18, v17, v1
	v_mov_b32_e32 v17, v0
.LBB3_108:                              ;   Parent Loop BB3_12 Depth=1
                                        ;     Parent Loop BB3_23 Depth=2
                                        ;       Parent Loop BB3_71 Depth=3
                                        ; =>      This Inner Loop Header: Depth=4
	global_load_b32 v18, v[15:16], off
	s_waitcnt vmcnt(0)
	v_dual_mul_f32 v18, v1, v18 :: v_dual_add_nc_u32 v17, 0x100, v17
	s_delay_alu instid0(VALU_DEP_1) | instskip(SKIP_2) | instid1(VALU_DEP_1)
	v_cmp_lt_i32_e32 vcc_lo, s58, v17
	global_store_b32 v[15:16], v18, off
	v_add_co_u32 v15, s7, 0x400, v15
	v_add_co_ci_u32_e64 v16, s7, 0, v16, s7
	s_or_b32 s9, vcc_lo, s9
	s_delay_alu instid0(SALU_CYCLE_1)
	s_and_not1_b32 exec_lo, exec_lo, s9
	s_cbranch_execnz .LBB3_108
.LBB3_109:                              ;   in Loop: Header=BB3_71 Depth=3
	s_or_b32 exec_lo, exec_lo, s8
	s_waitcnt_vscnt null, 0x0
	s_barrier
	buffer_gl0_inv
	s_and_saveexec_b32 s35, s2
	s_cbranch_execz .LBB3_136
; %bb.110:                              ;   in Loop: Header=BB3_71 Depth=3
	s_clause 0x1
	global_load_b64 v[15:16], v2, s[20:21]
	global_load_b32 v1, v2, s[42:43]
	s_and_not1_b32 vcc_lo, exec_lo, vcc_hi
	s_mov_b64 s[8:9], s[28:29]
	s_mov_b64 s[70:71], s[46:47]
	;; [unrolled: 1-line block ×3, first 2 shown]
	s_mov_b32 s7, s59
	s_waitcnt vmcnt(0)
	v_max3_f32 v1, |v15|, |v16|, |v1|
	s_cbranch_vccnz .LBB3_112
	.p2align	6
.LBB3_111:                              ;   Parent Loop BB3_12 Depth=1
                                        ;     Parent Loop BB3_23 Depth=2
                                        ;       Parent Loop BB3_71 Depth=3
                                        ; =>      This Inner Loop Header: Depth=4
	s_clause 0x2
	global_load_b32 v15, v2, s[72:73]
	global_load_b32 v16, v2, s[8:9]
	global_load_b32 v17, v2, s[70:71]
	s_add_i32 s7, s7, -1
	s_add_u32 s72, s72, 4
	s_addc_u32 s73, s73, 0
	s_add_u32 s70, s70, 4
	s_addc_u32 s71, s71, 0
	;; [unrolled: 2-line block ×3, first 2 shown]
	s_cmp_lg_u32 s7, 0
	s_waitcnt vmcnt(2)
	v_max_f32_e64 v15, |v15|, |v15|
	s_waitcnt vmcnt(1)
	v_max_f32_e64 v16, |v16|, |v16|
	s_delay_alu instid0(VALU_DEP_1) | instskip(SKIP_1) | instid1(VALU_DEP_1)
	v_max_f32_e32 v15, v16, v15
	s_waitcnt vmcnt(0)
	v_max3_f32 v1, v1, |v17|, v15
	s_cbranch_scc1 .LBB3_111
.LBB3_112:                              ;   in Loop: Header=BB3_71 Depth=3
	s_mov_b32 s8, 1
	s_mov_b64 s[70:71], 0
	s_mov_b32 s7, s58
	s_branch .LBB3_114
.LBB3_113:                              ;   in Loop: Header=BB3_114 Depth=4
	s_add_u32 s74, s74, s70
	s_addc_u32 s75, s75, s71
	s_add_i32 s8, s8, 1
	global_load_b32 v17, v2, s[74:75]
	s_add_u32 s70, s70, 4
	s_addc_u32 s71, s71, 0
	s_add_i32 s7, s7, -1
	s_delay_alu instid0(SALU_CYCLE_1)
	s_cmp_lg_u32 s7, 0
	s_waitcnt vmcnt(0)
	v_fma_f32 v15, -v16, v17, v15
	global_store_b32 v2, v15, s[72:73]
	s_cbranch_scc0 .LBB3_118
.LBB3_114:                              ;   Parent Loop BB3_12 Depth=1
                                        ;     Parent Loop BB3_23 Depth=2
                                        ;       Parent Loop BB3_71 Depth=3
                                        ; =>      This Inner Loop Header: Depth=4
	s_add_u32 s72, s86, s70
	s_addc_u32 s73, s87, s71
	global_load_b32 v15, v2, s[72:73]
	s_waitcnt vmcnt(0)
	v_cmp_ne_u32_e32 vcc_lo, 0, v15
	s_cbranch_vccz .LBB3_116
; %bb.115:                              ;   in Loop: Header=BB3_114 Depth=4
	s_add_u32 s74, s101, s70
	s_addc_u32 s75, s102, s71
	s_mov_b32 s9, 0
	global_load_b64 v[15:16], v2, s[74:75] offset:-4
	s_lshl_b64 s[72:73], s[8:9], 2
	s_delay_alu instid0(SALU_CYCLE_1)
	s_add_u32 s72, s14, s72
	s_addc_u32 s73, s15, s73
	s_waitcnt vmcnt(0)
	global_store_b32 v2, v16, s[74:75] offset:-4
	s_mov_b64 s[74:75], s[38:39]
	s_cbranch_execnz .LBB3_113
	s_branch .LBB3_117
.LBB3_116:                              ;   in Loop: Header=BB3_114 Depth=4
                                        ; implicit-def: $sgpr72_sgpr73
                                        ; implicit-def: $vgpr15
	s_mov_b64 s[74:75], s[38:39]
.LBB3_117:                              ;   in Loop: Header=BB3_114 Depth=4
	s_add_u32 s72, s101, s70
	s_addc_u32 s73, s102, s71
	s_add_u32 s74, s38, s70
	s_addc_u32 s75, s39, s71
	s_clause 0x1
	global_load_b32 v15, v2, s[72:73]
	global_load_b32 v16, v2, s[74:75]
	s_mov_b64 s[74:75], s[14:15]
	s_branch .LBB3_113
.LBB3_118:                              ;   in Loop: Header=BB3_71 Depth=3
	v_mul_f32_e32 v1, s36, v1
	s_mov_b32 s22, s58
	s_delay_alu instid0(VALU_DEP_1) | instskip(SKIP_1) | instid1(VALU_DEP_1)
	v_cmp_eq_f32_e32 vcc_lo, 0, v1
	v_cndmask_b32_e64 v1, v1, s36, vcc_lo
	v_and_b32_e32 v15, 0x7fffffff, v1
	s_branch .LBB3_121
.LBB3_119:                              ;   in Loop: Header=BB3_121 Depth=4
	s_delay_alu instid0(VALU_DEP_1)
	v_mov_b32_e32 v17, v21
.LBB3_120:                              ;   in Loop: Header=BB3_121 Depth=4
	s_delay_alu instid0(VALU_DEP_1) | instskip(SKIP_3) | instid1(VALU_DEP_1)
	v_div_scale_f32 v18, null, v17, v17, v16
	s_add_i32 s7, s22, -1
	s_cmp_gt_i32 s22, 0
	s_mov_b32 s22, s7
	v_rcp_f32_e32 v19, v18
	s_waitcnt_depctr 0xfff
	v_fma_f32 v20, -v18, v19, 1.0
	s_delay_alu instid0(VALU_DEP_1) | instskip(SKIP_1) | instid1(VALU_DEP_1)
	v_fmac_f32_e32 v19, v20, v19
	v_div_scale_f32 v20, vcc_lo, v16, v17, v16
	v_mul_f32_e32 v21, v20, v19
	s_delay_alu instid0(VALU_DEP_1) | instskip(NEXT) | instid1(VALU_DEP_1)
	v_fma_f32 v22, -v18, v21, v20
	v_fmac_f32_e32 v21, v22, v19
	s_delay_alu instid0(VALU_DEP_1) | instskip(NEXT) | instid1(VALU_DEP_1)
	v_fma_f32 v18, -v18, v21, v20
	v_div_fmas_f32 v18, v18, v19, v21
	s_delay_alu instid0(VALU_DEP_1)
	v_div_fixup_f32 v16, v18, v17, v16
	global_store_b32 v2, v16, s[8:9]
	s_cbranch_scc0 .LBB3_136
.LBB3_121:                              ;   Parent Loop BB3_12 Depth=1
                                        ;     Parent Loop BB3_23 Depth=2
                                        ;       Parent Loop BB3_71 Depth=3
                                        ; =>      This Loop Header: Depth=4
                                        ;           Child Loop BB3_128 Depth 5
	s_lshl_b64 s[70:71], s[22:23], 2
	s_delay_alu instid0(SALU_CYCLE_1)
	s_add_u32 s8, s14, s70
	s_addc_u32 s9, s15, s71
	s_cmp_ge_i32 s22, s58
	global_load_b32 v16, v2, s[8:9]
	s_cbranch_scc1 .LBB3_123
; %bb.122:                              ;   in Loop: Header=BB3_121 Depth=4
	s_add_u32 s72, s42, s70
	s_addc_u32 s73, s43, s71
	s_clause 0x1
	global_load_b32 v17, v2, s[72:73]
	global_load_b32 v18, v2, s[8:9] offset:4
	s_waitcnt vmcnt(0)
	v_fma_f32 v16, -v17, v18, v16
.LBB3_123:                              ;   in Loop: Header=BB3_121 Depth=4
	s_cmp_ge_i32 s22, s59
	s_cbranch_scc1 .LBB3_125
; %bb.124:                              ;   in Loop: Header=BB3_121 Depth=4
	s_add_u32 s72, s40, s70
	s_addc_u32 s73, s41, s71
	s_clause 0x1
	global_load_b32 v17, v2, s[72:73]
	global_load_b32 v18, v2, s[8:9] offset:8
	s_waitcnt vmcnt(0)
	v_fma_f32 v16, -v17, v18, v16
.LBB3_125:                              ;   in Loop: Header=BB3_121 Depth=4
	s_add_u32 s70, s20, s70
	s_addc_u32 s71, s21, s71
	global_load_b32 v17, v2, s[70:71]
	s_waitcnt vmcnt(0)
	v_cmp_nlt_f32_e64 s7, |v17|, 1.0
	s_delay_alu instid0(VALU_DEP_1)
	s_and_b32 vcc_lo, exec_lo, s7
	s_cbranch_vccnz .LBB3_120
; %bb.126:                              ;   in Loop: Header=BB3_121 Depth=4
	v_cmp_nle_f32_e32 vcc_lo, 0, v17
	v_and_b32_e32 v20, 0x7fffffff, v17
	v_mul_f32_e64 v18, |v16|, s37
	v_cndmask_b32_e64 v19, |v1|, -v15, vcc_lo
	s_branch .LBB3_128
	.p2align	6
.LBB3_127:                              ;   in Loop: Header=BB3_128 Depth=5
	v_add_f32_e32 v21, v17, v19
	v_dual_add_f32 v19, v19, v19 :: v_dual_mov_b32 v22, v17
	s_mov_b32 s7, -1
	s_delay_alu instid0(VALU_DEP_2) | instskip(SKIP_2) | instid1(VALU_DEP_2)
	v_and_b32_e32 v20, 0x7fffffff, v21
	v_cmp_nlt_f32_e64 s70, |v21|, 1.0
	v_mov_b32_e32 v17, v21
	s_and_not1_b32 vcc_lo, exec_lo, s70
	s_cbranch_vccz .LBB3_134
.LBB3_128:                              ;   Parent Loop BB3_12 Depth=1
                                        ;     Parent Loop BB3_23 Depth=2
                                        ;       Parent Loop BB3_71 Depth=3
                                        ;         Parent Loop BB3_121 Depth=4
                                        ; =>        This Inner Loop Header: Depth=5
	s_delay_alu instid0(VALU_DEP_3)
	v_cmp_ngt_f32_e32 vcc_lo, s37, v20
	s_cbranch_vccz .LBB3_130
; %bb.129:                              ;   in Loop: Header=BB3_128 Depth=5
	v_mul_f32_e32 v21, v26, v20
	s_mov_b32 s7, -1
	s_delay_alu instid0(VALU_DEP_1)
	v_cmp_gt_f32_e64 s70, |v16|, v21
	v_mov_b32_e32 v21, v17
	v_mov_b32_e32 v22, v17
	s_cbranch_execz .LBB3_131
	s_branch .LBB3_132
.LBB3_130:                              ;   in Loop: Header=BB3_128 Depth=5
	s_mov_b32 s70, 0
                                        ; implicit-def: $sgpr7
	v_mov_b32_e32 v21, v17
	v_mov_b32_e32 v22, v17
.LBB3_131:                              ;   in Loop: Header=BB3_128 Depth=5
	v_cmp_eq_f32_e32 vcc_lo, 0, v17
	v_cmp_gt_f32_e64 s7, v18, v20
	v_mov_b32_e32 v22, v17
                                        ; implicit-def: $vgpr21
	s_delay_alu instid0(VALU_DEP_2)
	s_or_b32 s70, vcc_lo, s7
	s_mov_b32 s7, 0
.LBB3_132:                              ;   in Loop: Header=BB3_128 Depth=5
	s_and_not1_b32 vcc_lo, exec_lo, s70
	s_cbranch_vccz .LBB3_127
; %bb.133:                              ;   in Loop: Header=BB3_121 Depth=4
                                        ; implicit-def: $vgpr19
                                        ; implicit-def: $vgpr20
	v_mov_b32_e32 v17, v21
.LBB3_134:                              ;   in Loop: Header=BB3_121 Depth=4
	s_and_not1_b32 vcc_lo, exec_lo, s7
	s_cbranch_vccz .LBB3_119
; %bb.135:                              ;   in Loop: Header=BB3_121 Depth=4
	v_mul_f32_e32 v16, v26, v16
	v_mul_f32_e32 v21, v26, v22
	s_branch .LBB3_119
.LBB3_136:                              ;   in Loop: Header=BB3_71 Depth=3
	s_or_b32 exec_lo, exec_lo, s35
	s_delay_alu instid0(SALU_CYCLE_1)
	s_and_not1_b32 vcc_lo, exec_lo, s69
	s_waitcnt_vscnt null, 0x0
	s_barrier
	buffer_gl0_inv
	s_cbranch_vccnz .LBB3_146
; %bb.137:                              ;   in Loop: Header=BB3_71 Depth=3
	s_and_b32 s7, s76, exec_lo
	s_cselect_b32 s7, s68, s104
	s_mov_b32 s104, s68
	s_cmp_eq_u32 s7, s68
	s_cbranch_scc1 .LBB3_146
; %bb.138:                              ;   in Loop: Header=BB3_71 Depth=3
	s_cmp_lt_i32 s7, s68
	s_cselect_b32 s8, -1, 0
	s_delay_alu instid0(SALU_CYCLE_1) | instskip(NEXT) | instid1(SALU_CYCLE_1)
	s_and_b32 s8, s2, s8
	s_and_saveexec_b32 s22, s8
	s_cbranch_execz .LBB3_145
; %bb.139:                              ;   in Loop: Header=BB3_71 Depth=3
	s_mul_i32 s8, s11, s7
	s_mov_b32 s72, s7
	s_add_i32 s35, s54, s8
	s_set_inst_prefetch_distance 0x1
	.p2align	6
.LBB3_140:                              ;   Parent Loop BB3_12 Depth=1
                                        ;     Parent Loop BB3_23 Depth=2
                                        ;       Parent Loop BB3_71 Depth=3
                                        ; =>      This Loop Header: Depth=4
                                        ;           Child Loop BB3_141 Depth 5
                                        ;           Child Loop BB3_143 Depth 5
	v_mov_b32_e32 v1, 0
	s_mov_b64 s[8:9], s[14:15]
	s_mov_b32 s70, s35
	s_mov_b32 s73, s26
.LBB3_141:                              ;   Parent Loop BB3_12 Depth=1
                                        ;     Parent Loop BB3_23 Depth=2
                                        ;       Parent Loop BB3_71 Depth=3
                                        ;         Parent Loop BB3_140 Depth=4
                                        ; =>        This Inner Loop Header: Depth=5
	s_ashr_i32 s71, s70, 31
	s_delay_alu instid0(SALU_CYCLE_1) | instskip(NEXT) | instid1(SALU_CYCLE_1)
	s_lshl_b64 s[74:75], s[70:71], 3
	s_add_u32 s74, s10, s74
	s_addc_u32 s75, s88, s75
	s_clause 0x1
	global_load_b32 v15, v2, s[8:9]
	global_load_b32 v16, v2, s[74:75]
	s_add_i32 s73, s73, -1
	s_add_i32 s70, s70, 1
	s_add_u32 s8, s8, 4
	s_addc_u32 s9, s9, 0
	s_cmp_lg_u32 s73, 0
	s_waitcnt vmcnt(0)
	v_fmac_f32_e32 v1, v15, v16
	s_cbranch_scc1 .LBB3_141
; %bb.142:                              ;   in Loop: Header=BB3_140 Depth=4
	s_mov_b32 s70, 0
	s_mov_b64 s[8:9], s[14:15]
	.p2align	6
.LBB3_143:                              ;   Parent Loop BB3_12 Depth=1
                                        ;     Parent Loop BB3_23 Depth=2
                                        ;       Parent Loop BB3_71 Depth=3
                                        ;         Parent Loop BB3_140 Depth=4
                                        ; =>        This Inner Loop Header: Depth=5
	s_add_i32 s74, s35, s70
	global_load_b32 v15, v2, s[8:9]
	s_ashr_i32 s75, s74, 31
	s_delay_alu instid0(SALU_CYCLE_1) | instskip(NEXT) | instid1(SALU_CYCLE_1)
	s_lshl_b64 s[74:75], s[74:75], 3
	s_add_u32 s74, s10, s74
	s_addc_u32 s75, s88, s75
	s_add_i32 s70, s70, 1
	global_load_b32 v16, v2, s[74:75]
	s_waitcnt vmcnt(0)
	v_fma_f32 v15, -v1, v16, v15
	global_store_b32 v2, v15, s[8:9]
	s_add_u32 s8, s8, 4
	s_addc_u32 s9, s9, 0
	s_cmp_lg_u32 s26, s70
	s_cbranch_scc1 .LBB3_143
; %bb.144:                              ;   in Loop: Header=BB3_140 Depth=4
	s_add_i32 s72, s72, 1
	s_add_i32 s35, s35, s11
	s_cmp_lt_i32 s72, s68
	s_cbranch_scc1 .LBB3_140
.LBB3_145:                              ;   in Loop: Header=BB3_71 Depth=3
	s_set_inst_prefetch_distance 0x2
	s_or_b32 exec_lo, exec_lo, s22
	s_mov_b32 s104, s7
	s_waitcnt_vscnt null, 0x0
	s_barrier
	buffer_gl0_inv
.LBB3_146:                              ;   in Loop: Header=BB3_71 Depth=3
	v_bfrev_b32_e32 v17, -2
	v_mov_b32_e32 v1, 0
	s_and_saveexec_b32 s8, s5
	s_cbranch_execz .LBB3_150
; %bb.147:                              ;   in Loop: Header=BB3_71 Depth=3
	v_dual_mov_b32 v1, 0 :: v_dual_mov_b32 v16, v4
	v_bfrev_b32_e32 v17, -2
	v_dual_mov_b32 v15, v3 :: v_dual_mov_b32 v18, v0
	s_mov_b32 s9, 0
	.p2align	6
.LBB3_148:                              ;   Parent Loop BB3_12 Depth=1
                                        ;     Parent Loop BB3_23 Depth=2
                                        ;       Parent Loop BB3_71 Depth=3
                                        ; =>      This Inner Loop Header: Depth=4
	global_load_b32 v19, v[15:16], off
	v_cmp_eq_u32_e32 vcc_lo, 0x7fffffff, v17
	v_add_nc_u32_e32 v20, 1, v18
	v_add_co_u32 v15, s7, 0x400, v15
	s_delay_alu instid0(VALU_DEP_1) | instskip(SKIP_2) | instid1(VALU_DEP_1)
	v_add_co_ci_u32_e64 v16, s7, 0, v16, s7
	s_waitcnt vmcnt(0)
	v_cmp_lt_f32_e64 s22, v1, |v19|
	s_or_b32 vcc_lo, s22, vcc_lo
	v_dual_cndmask_b32 v17, v17, v20 :: v_dual_add_nc_u32 v18, 0x100, v18
	v_cndmask_b32_e64 v1, v1, |v19|, vcc_lo
	s_delay_alu instid0(VALU_DEP_2) | instskip(NEXT) | instid1(VALU_DEP_1)
	v_cmp_lt_i32_e64 s7, s58, v18
	s_or_b32 s9, s7, s9
	s_delay_alu instid0(SALU_CYCLE_1)
	s_and_not1_b32 exec_lo, exec_lo, s9
	s_cbranch_execnz .LBB3_148
; %bb.149:                              ;   in Loop: Header=BB3_71 Depth=3
	s_or_b32 exec_lo, exec_lo, s9
.LBB3_150:                              ;   in Loop: Header=BB3_71 Depth=3
	s_delay_alu instid0(SALU_CYCLE_1)
	s_or_b32 exec_lo, exec_lo, s8
	ds_store_2addr_stride64_b32 v24, v1, v17 offset1:8
	s_waitcnt lgkmcnt(0)
	s_barrier
	buffer_gl0_inv
	s_and_saveexec_b32 s8, s0
	s_cbranch_execz .LBB3_156
; %bb.151:                              ;   in Loop: Header=BB3_71 Depth=3
	ds_load_b32 v15, v24 offset:512
	ds_load_b32 v16, v25 offset:512
	s_mov_b32 s22, exec_lo
	s_waitcnt lgkmcnt(1)
	v_cmp_lt_f32_e64 s9, v1, v15
	v_cmpx_nlt_f32_e32 v1, v15
	s_cbranch_execz .LBB3_153
; %bb.152:                              ;   in Loop: Header=BB3_71 Depth=3
	v_cmp_eq_f32_e32 vcc_lo, v1, v15
	s_waitcnt lgkmcnt(0)
	v_cmp_gt_i32_e64 s7, v17, v16
	s_and_not1_b32 s9, s9, exec_lo
	s_delay_alu instid0(VALU_DEP_1) | instskip(NEXT) | instid1(SALU_CYCLE_1)
	s_and_b32 s7, vcc_lo, s7
	s_and_b32 s7, s7, exec_lo
	s_delay_alu instid0(SALU_CYCLE_1)
	s_or_b32 s9, s9, s7
.LBB3_153:                              ;   in Loop: Header=BB3_71 Depth=3
	s_or_b32 exec_lo, exec_lo, s22
	s_delay_alu instid0(VALU_DEP_2)
	s_and_saveexec_b32 s7, s9
	s_cbranch_execz .LBB3_155
; %bb.154:                              ;   in Loop: Header=BB3_71 Depth=3
	s_waitcnt lgkmcnt(0)
	v_mov_b32_e32 v17, v16
	v_mov_b32_e32 v1, v15
	ds_store_2addr_stride64_b32 v24, v15, v16 offset1:8
.LBB3_155:                              ;   in Loop: Header=BB3_71 Depth=3
	s_or_b32 exec_lo, exec_lo, s7
.LBB3_156:                              ;   in Loop: Header=BB3_71 Depth=3
	s_delay_alu instid0(SALU_CYCLE_1)
	s_or_b32 exec_lo, exec_lo, s8
	s_waitcnt lgkmcnt(0)
	s_barrier
	buffer_gl0_inv
	s_and_saveexec_b32 s8, s1
	s_cbranch_execz .LBB3_162
; %bb.157:                              ;   in Loop: Header=BB3_71 Depth=3
	ds_load_b32 v15, v24 offset:256
	ds_load_b32 v16, v25 offset:256
	s_mov_b32 s22, exec_lo
	s_waitcnt lgkmcnt(1)
	v_cmp_lt_f32_e64 s9, v1, v15
	v_cmpx_nlt_f32_e32 v1, v15
	s_cbranch_execz .LBB3_159
; %bb.158:                              ;   in Loop: Header=BB3_71 Depth=3
	v_cmp_eq_f32_e32 vcc_lo, v1, v15
	s_waitcnt lgkmcnt(0)
	v_cmp_gt_i32_e64 s7, v17, v16
	s_and_not1_b32 s9, s9, exec_lo
	s_delay_alu instid0(VALU_DEP_1) | instskip(NEXT) | instid1(SALU_CYCLE_1)
	s_and_b32 s7, vcc_lo, s7
	s_and_b32 s7, s7, exec_lo
	s_delay_alu instid0(SALU_CYCLE_1)
	s_or_b32 s9, s9, s7
.LBB3_159:                              ;   in Loop: Header=BB3_71 Depth=3
	s_or_b32 exec_lo, exec_lo, s22
	s_delay_alu instid0(VALU_DEP_2)
	s_and_saveexec_b32 s7, s9
	s_cbranch_execz .LBB3_161
; %bb.160:                              ;   in Loop: Header=BB3_71 Depth=3
	s_waitcnt lgkmcnt(0)
	v_mov_b32_e32 v17, v16
	v_mov_b32_e32 v1, v15
	ds_store_2addr_stride64_b32 v24, v15, v16 offset1:8
.LBB3_161:                              ;   in Loop: Header=BB3_71 Depth=3
	s_or_b32 exec_lo, exec_lo, s7
.LBB3_162:                              ;   in Loop: Header=BB3_71 Depth=3
	s_delay_alu instid0(SALU_CYCLE_1)
	s_or_b32 exec_lo, exec_lo, s8
	s_waitcnt lgkmcnt(0)
	s_barrier
	buffer_gl0_inv
	s_and_saveexec_b32 s9, s3
	s_cbranch_execz .LBB3_185
; %bb.163:                              ;   in Loop: Header=BB3_71 Depth=3
	ds_load_b32 v15, v24 offset:128
	ds_load_b32 v16, v25 offset:128
	s_mov_b32 s22, exec_lo
	s_waitcnt lgkmcnt(1)
	v_cmp_lt_f32_e64 s8, v1, v15
	v_cmpx_nlt_f32_e32 v1, v15
	s_cbranch_execz .LBB3_165
; %bb.164:                              ;   in Loop: Header=BB3_71 Depth=3
	v_cmp_eq_f32_e32 vcc_lo, v1, v15
	s_waitcnt lgkmcnt(0)
	v_cmp_gt_i32_e64 s7, v17, v16
	s_and_not1_b32 s8, s8, exec_lo
	s_delay_alu instid0(VALU_DEP_1) | instskip(NEXT) | instid1(SALU_CYCLE_1)
	s_and_b32 s7, vcc_lo, s7
	s_and_b32 s7, s7, exec_lo
	s_delay_alu instid0(SALU_CYCLE_1)
	s_or_b32 s8, s8, s7
.LBB3_165:                              ;   in Loop: Header=BB3_71 Depth=3
	s_or_b32 exec_lo, exec_lo, s22
	s_delay_alu instid0(VALU_DEP_2)
	s_and_saveexec_b32 s7, s8
	s_cbranch_execz .LBB3_167
; %bb.166:                              ;   in Loop: Header=BB3_71 Depth=3
	v_mov_b32_e32 v1, v15
	s_waitcnt lgkmcnt(0)
	v_mov_b32_e32 v17, v16
	ds_store_2addr_stride64_b32 v24, v15, v16 offset1:8
.LBB3_167:                              ;   in Loop: Header=BB3_71 Depth=3
	s_or_b32 exec_lo, exec_lo, s7
	ds_load_b32 v15, v24 offset:64
	s_waitcnt lgkmcnt(1)
	ds_load_b32 v16, v25 offset:64
	s_mov_b32 s22, exec_lo
	s_waitcnt lgkmcnt(1)
	v_cmp_lt_f32_e64 s8, v1, v15
	v_cmpx_nlt_f32_e32 v1, v15
	s_cbranch_execz .LBB3_169
; %bb.168:                              ;   in Loop: Header=BB3_71 Depth=3
	v_cmp_eq_f32_e32 vcc_lo, v1, v15
	s_waitcnt lgkmcnt(0)
	v_cmp_gt_i32_e64 s7, v17, v16
	s_and_not1_b32 s8, s8, exec_lo
	s_delay_alu instid0(VALU_DEP_1) | instskip(NEXT) | instid1(SALU_CYCLE_1)
	s_and_b32 s7, vcc_lo, s7
	s_and_b32 s7, s7, exec_lo
	s_delay_alu instid0(SALU_CYCLE_1)
	s_or_b32 s8, s8, s7
.LBB3_169:                              ;   in Loop: Header=BB3_71 Depth=3
	s_or_b32 exec_lo, exec_lo, s22
	s_delay_alu instid0(VALU_DEP_2)
	s_and_saveexec_b32 s7, s8
	s_cbranch_execz .LBB3_171
; %bb.170:                              ;   in Loop: Header=BB3_71 Depth=3
	v_mov_b32_e32 v1, v15
	s_waitcnt lgkmcnt(0)
	v_mov_b32_e32 v17, v16
	ds_store_2addr_stride64_b32 v24, v15, v16 offset1:8
.LBB3_171:                              ;   in Loop: Header=BB3_71 Depth=3
	s_or_b32 exec_lo, exec_lo, s7
	ds_load_b32 v15, v24 offset:32
	s_waitcnt lgkmcnt(1)
	;; [unrolled: 30-line block ×5, first 2 shown]
	ds_load_b32 v16, v25 offset:4
	s_waitcnt lgkmcnt(1)
	v_cmp_eq_f32_e32 vcc_lo, v1, v15
	s_waitcnt lgkmcnt(0)
	v_cmp_gt_i32_e64 s7, v17, v16
	v_cmp_lt_f32_e64 s8, v1, v15
	s_delay_alu instid0(VALU_DEP_2)
	s_and_b32 s7, vcc_lo, s7
	s_delay_alu instid0(VALU_DEP_1) | instid1(SALU_CYCLE_1)
	s_or_b32 s7, s8, s7
	s_delay_alu instid0(SALU_CYCLE_1)
	s_and_b32 exec_lo, exec_lo, s7
	s_cbranch_execz .LBB3_185
; %bb.184:                              ;   in Loop: Header=BB3_71 Depth=3
	ds_store_2addr_stride64_b32 v24, v15, v16 offset1:8
.LBB3_185:                              ;   in Loop: Header=BB3_71 Depth=3
	s_or_b32 exec_lo, exec_lo, s9
	s_waitcnt lgkmcnt(0)
	s_barrier
	buffer_gl0_inv
	ds_load_b32 v1, v29
	s_waitcnt lgkmcnt(0)
	v_cmp_ge_f32_e32 vcc_lo, v1, v33
	s_cmp_lg_u32 vcc_lo, 0
	s_addc_u32 s77, s77, 0
	s_add_i32 s7, s34, 1
	s_cmp_lt_u32 s34, 4
	s_cselect_b32 s9, -1, 0
	s_cmp_lt_u32 s77, 2
	s_cselect_b32 s8, -1, 0
	s_delay_alu instid0(SALU_CYCLE_1) | instskip(NEXT) | instid1(SALU_CYCLE_1)
	s_and_b32 s9, s9, s8
	s_and_b32 vcc_lo, exec_lo, s9
	s_cbranch_vccz .LBB3_187
; %bb.186:                              ;   in Loop: Header=BB3_71 Depth=3
	s_mov_b32 s34, s7
	v_bfrev_b32_e32 v17, -2
	v_mov_b32_e32 v1, 0
	s_and_saveexec_b32 s8, s5
	s_cbranch_execnz .LBB3_68
	s_branch .LBB3_71
.LBB3_187:                              ;   in Loop: Header=BB3_23 Depth=2
	s_and_b32 s8, s25, s8
	s_delay_alu instid0(SALU_CYCLE_1)
	s_and_saveexec_b32 s7, s8
	s_cbranch_execz .LBB3_189
; %bb.188:                              ;   in Loop: Header=BB3_23 Depth=2
	ds_load_b32 v15, v2
	s_add_i32 s8, s68, 1
	s_delay_alu instid0(SALU_CYCLE_1) | instskip(SKIP_2) | instid1(VALU_DEP_1)
	v_mov_b32_e32 v1, s8
	s_waitcnt lgkmcnt(0)
	v_ashrrev_i32_e32 v16, 31, v15
	v_lshlrev_b64 v[16:17], 2, v[15:16]
	v_add_nc_u32_e32 v15, 1, v15
	s_delay_alu instid0(VALU_DEP_2) | instskip(NEXT) | instid1(VALU_DEP_3)
	v_add_co_u32 v16, vcc_lo, s44, v16
	v_add_co_ci_u32_e32 v17, vcc_lo, s45, v17, vcc_lo
	flat_store_b32 v[16:17], v1
	ds_store_b32 v2, v15
.LBB3_189:                              ;   in Loop: Header=BB3_23 Depth=2
	s_or_b32 exec_lo, exec_lo, s7
	v_bfrev_b32_e32 v17, -2
	v_mov_b32_e32 v1, 0
	s_and_saveexec_b32 s8, s5
	s_cbranch_execz .LBB3_193
; %bb.190:                              ;   in Loop: Header=BB3_23 Depth=2
	v_dual_mov_b32 v1, 0 :: v_dual_mov_b32 v16, v4
	v_bfrev_b32_e32 v17, -2
	v_dual_mov_b32 v15, v3 :: v_dual_mov_b32 v18, v0
	s_mov_b32 s9, 0
	.p2align	6
.LBB3_191:                              ;   Parent Loop BB3_12 Depth=1
                                        ;     Parent Loop BB3_23 Depth=2
                                        ; =>    This Inner Loop Header: Depth=3
	global_load_b32 v19, v[15:16], off
	v_cmp_eq_u32_e32 vcc_lo, 0x7fffffff, v17
	v_add_nc_u32_e32 v20, 1, v18
	v_add_co_u32 v15, s7, 0x400, v15
	s_delay_alu instid0(VALU_DEP_1) | instskip(SKIP_2) | instid1(VALU_DEP_1)
	v_add_co_ci_u32_e64 v16, s7, 0, v16, s7
	s_waitcnt vmcnt(0)
	v_cmp_lt_f32_e64 s22, v1, |v19|
	s_or_b32 vcc_lo, s22, vcc_lo
	v_dual_cndmask_b32 v17, v17, v20 :: v_dual_add_nc_u32 v18, 0x100, v18
	v_cndmask_b32_e64 v1, v1, |v19|, vcc_lo
	s_delay_alu instid0(VALU_DEP_2) | instskip(NEXT) | instid1(VALU_DEP_1)
	v_cmp_lt_i32_e64 s7, s58, v18
	s_or_b32 s9, s7, s9
	s_delay_alu instid0(SALU_CYCLE_1)
	s_and_not1_b32 exec_lo, exec_lo, s9
	s_cbranch_execnz .LBB3_191
; %bb.192:                              ;   in Loop: Header=BB3_23 Depth=2
	s_or_b32 exec_lo, exec_lo, s9
.LBB3_193:                              ;   in Loop: Header=BB3_23 Depth=2
	s_delay_alu instid0(SALU_CYCLE_1)
	s_or_b32 exec_lo, exec_lo, s8
	ds_store_2addr_stride64_b32 v24, v1, v17 offset1:8
	s_waitcnt lgkmcnt(0)
	s_waitcnt_vscnt null, 0x0
	s_barrier
	buffer_gl0_inv
	s_and_saveexec_b32 s8, s0
	s_cbranch_execz .LBB3_199
; %bb.194:                              ;   in Loop: Header=BB3_23 Depth=2
	ds_load_b32 v15, v24 offset:512
	ds_load_b32 v16, v25 offset:512
	s_mov_b32 s22, exec_lo
	s_waitcnt lgkmcnt(1)
	v_cmp_lt_f32_e64 s9, v1, v15
	v_cmpx_nlt_f32_e32 v1, v15
	s_cbranch_execz .LBB3_196
; %bb.195:                              ;   in Loop: Header=BB3_23 Depth=2
	v_cmp_eq_f32_e32 vcc_lo, v1, v15
	s_waitcnt lgkmcnt(0)
	v_cmp_gt_i32_e64 s7, v17, v16
	s_and_not1_b32 s9, s9, exec_lo
	s_delay_alu instid0(VALU_DEP_1) | instskip(NEXT) | instid1(SALU_CYCLE_1)
	s_and_b32 s7, vcc_lo, s7
	s_and_b32 s7, s7, exec_lo
	s_delay_alu instid0(SALU_CYCLE_1)
	s_or_b32 s9, s9, s7
.LBB3_196:                              ;   in Loop: Header=BB3_23 Depth=2
	s_or_b32 exec_lo, exec_lo, s22
	s_delay_alu instid0(VALU_DEP_2)
	s_and_saveexec_b32 s7, s9
	s_cbranch_execz .LBB3_198
; %bb.197:                              ;   in Loop: Header=BB3_23 Depth=2
	s_waitcnt lgkmcnt(0)
	v_mov_b32_e32 v17, v16
	v_mov_b32_e32 v1, v15
	ds_store_2addr_stride64_b32 v24, v15, v16 offset1:8
.LBB3_198:                              ;   in Loop: Header=BB3_23 Depth=2
	s_or_b32 exec_lo, exec_lo, s7
.LBB3_199:                              ;   in Loop: Header=BB3_23 Depth=2
	s_delay_alu instid0(SALU_CYCLE_1)
	s_or_b32 exec_lo, exec_lo, s8
	s_waitcnt lgkmcnt(0)
	s_barrier
	buffer_gl0_inv
	s_and_saveexec_b32 s8, s1
	s_cbranch_execz .LBB3_205
; %bb.200:                              ;   in Loop: Header=BB3_23 Depth=2
	ds_load_b32 v15, v24 offset:256
	ds_load_b32 v16, v25 offset:256
	s_mov_b32 s22, exec_lo
	s_waitcnt lgkmcnt(1)
	v_cmp_lt_f32_e64 s9, v1, v15
	v_cmpx_nlt_f32_e32 v1, v15
	s_cbranch_execz .LBB3_202
; %bb.201:                              ;   in Loop: Header=BB3_23 Depth=2
	v_cmp_eq_f32_e32 vcc_lo, v1, v15
	s_waitcnt lgkmcnt(0)
	v_cmp_gt_i32_e64 s7, v17, v16
	s_and_not1_b32 s9, s9, exec_lo
	s_delay_alu instid0(VALU_DEP_1) | instskip(NEXT) | instid1(SALU_CYCLE_1)
	s_and_b32 s7, vcc_lo, s7
	s_and_b32 s7, s7, exec_lo
	s_delay_alu instid0(SALU_CYCLE_1)
	s_or_b32 s9, s9, s7
.LBB3_202:                              ;   in Loop: Header=BB3_23 Depth=2
	s_or_b32 exec_lo, exec_lo, s22
	s_delay_alu instid0(VALU_DEP_2)
	s_and_saveexec_b32 s7, s9
	s_cbranch_execz .LBB3_204
; %bb.203:                              ;   in Loop: Header=BB3_23 Depth=2
	s_waitcnt lgkmcnt(0)
	v_mov_b32_e32 v17, v16
	v_mov_b32_e32 v1, v15
	ds_store_2addr_stride64_b32 v24, v15, v16 offset1:8
.LBB3_204:                              ;   in Loop: Header=BB3_23 Depth=2
	s_or_b32 exec_lo, exec_lo, s7
.LBB3_205:                              ;   in Loop: Header=BB3_23 Depth=2
	s_delay_alu instid0(SALU_CYCLE_1)
	s_or_b32 exec_lo, exec_lo, s8
	s_waitcnt lgkmcnt(0)
	s_barrier
	buffer_gl0_inv
	s_and_saveexec_b32 s9, s3
	s_cbranch_execz .LBB3_228
; %bb.206:                              ;   in Loop: Header=BB3_23 Depth=2
	ds_load_b32 v15, v24 offset:128
	ds_load_b32 v16, v25 offset:128
	s_mov_b32 s22, exec_lo
	s_waitcnt lgkmcnt(1)
	v_cmp_lt_f32_e64 s8, v1, v15
	v_cmpx_nlt_f32_e32 v1, v15
	s_cbranch_execz .LBB3_208
; %bb.207:                              ;   in Loop: Header=BB3_23 Depth=2
	v_cmp_eq_f32_e32 vcc_lo, v1, v15
	s_waitcnt lgkmcnt(0)
	v_cmp_gt_i32_e64 s7, v17, v16
	s_and_not1_b32 s8, s8, exec_lo
	s_delay_alu instid0(VALU_DEP_1) | instskip(NEXT) | instid1(SALU_CYCLE_1)
	s_and_b32 s7, vcc_lo, s7
	s_and_b32 s7, s7, exec_lo
	s_delay_alu instid0(SALU_CYCLE_1)
	s_or_b32 s8, s8, s7
.LBB3_208:                              ;   in Loop: Header=BB3_23 Depth=2
	s_or_b32 exec_lo, exec_lo, s22
	s_delay_alu instid0(VALU_DEP_2)
	s_and_saveexec_b32 s7, s8
	s_cbranch_execz .LBB3_210
; %bb.209:                              ;   in Loop: Header=BB3_23 Depth=2
	v_mov_b32_e32 v1, v15
	s_waitcnt lgkmcnt(0)
	v_mov_b32_e32 v17, v16
	ds_store_2addr_stride64_b32 v24, v15, v16 offset1:8
.LBB3_210:                              ;   in Loop: Header=BB3_23 Depth=2
	s_or_b32 exec_lo, exec_lo, s7
	ds_load_b32 v15, v24 offset:64
	s_waitcnt lgkmcnt(1)
	ds_load_b32 v16, v25 offset:64
	s_mov_b32 s22, exec_lo
	s_waitcnt lgkmcnt(1)
	v_cmp_lt_f32_e64 s8, v1, v15
	v_cmpx_nlt_f32_e32 v1, v15
	s_cbranch_execz .LBB3_212
; %bb.211:                              ;   in Loop: Header=BB3_23 Depth=2
	v_cmp_eq_f32_e32 vcc_lo, v1, v15
	s_waitcnt lgkmcnt(0)
	v_cmp_gt_i32_e64 s7, v17, v16
	s_and_not1_b32 s8, s8, exec_lo
	s_delay_alu instid0(VALU_DEP_1) | instskip(NEXT) | instid1(SALU_CYCLE_1)
	s_and_b32 s7, vcc_lo, s7
	s_and_b32 s7, s7, exec_lo
	s_delay_alu instid0(SALU_CYCLE_1)
	s_or_b32 s8, s8, s7
.LBB3_212:                              ;   in Loop: Header=BB3_23 Depth=2
	s_or_b32 exec_lo, exec_lo, s22
	s_delay_alu instid0(VALU_DEP_2)
	s_and_saveexec_b32 s7, s8
	s_cbranch_execz .LBB3_214
; %bb.213:                              ;   in Loop: Header=BB3_23 Depth=2
	v_mov_b32_e32 v1, v15
	s_waitcnt lgkmcnt(0)
	v_mov_b32_e32 v17, v16
	ds_store_2addr_stride64_b32 v24, v15, v16 offset1:8
.LBB3_214:                              ;   in Loop: Header=BB3_23 Depth=2
	s_or_b32 exec_lo, exec_lo, s7
	ds_load_b32 v15, v24 offset:32
	s_waitcnt lgkmcnt(1)
	;; [unrolled: 30-line block ×5, first 2 shown]
	ds_load_b32 v16, v25 offset:4
	s_waitcnt lgkmcnt(1)
	v_cmp_eq_f32_e32 vcc_lo, v1, v15
	s_waitcnt lgkmcnt(0)
	v_cmp_gt_i32_e64 s7, v17, v16
	v_cmp_lt_f32_e64 s8, v1, v15
	s_delay_alu instid0(VALU_DEP_2)
	s_and_b32 s7, vcc_lo, s7
	s_delay_alu instid0(VALU_DEP_1) | instid1(SALU_CYCLE_1)
	s_or_b32 s7, s8, s7
	s_delay_alu instid0(SALU_CYCLE_1)
	s_and_b32 exec_lo, exec_lo, s7
	s_cbranch_execz .LBB3_228
; %bb.227:                              ;   in Loop: Header=BB3_23 Depth=2
	ds_store_2addr_stride64_b32 v24, v15, v16 offset1:8
.LBB3_228:                              ;   in Loop: Header=BB3_23 Depth=2
	s_or_b32 exec_lo, exec_lo, s9
	v_mov_b32_e32 v1, 0
	s_and_saveexec_b32 s8, s5
	s_cbranch_execz .LBB3_232
; %bb.229:                              ;   in Loop: Header=BB3_23 Depth=2
	v_dual_mov_b32 v1, 0 :: v_dual_mov_b32 v16, v4
	v_mov_b32_e32 v15, v3
	v_mov_b32_e32 v17, v0
	s_mov_b32 s9, 0
.LBB3_230:                              ;   Parent Loop BB3_12 Depth=1
                                        ;     Parent Loop BB3_23 Depth=2
                                        ; =>    This Inner Loop Header: Depth=3
	global_load_b32 v18, v[15:16], off
	v_add_nc_u32_e32 v17, 0x100, v17
	v_add_co_u32 v15, vcc_lo, 0x400, v15
	v_add_co_ci_u32_e32 v16, vcc_lo, 0, v16, vcc_lo
	s_delay_alu instid0(VALU_DEP_3) | instskip(NEXT) | instid1(VALU_DEP_1)
	v_cmp_lt_i32_e64 s7, s58, v17
	s_or_b32 s9, s7, s9
	s_waitcnt vmcnt(0)
	v_fmac_f32_e32 v1, v18, v18
	s_and_not1_b32 exec_lo, exec_lo, s9
	s_cbranch_execnz .LBB3_230
; %bb.231:                              ;   in Loop: Header=BB3_23 Depth=2
	s_or_b32 exec_lo, exec_lo, s9
.LBB3_232:                              ;   in Loop: Header=BB3_23 Depth=2
	s_delay_alu instid0(SALU_CYCLE_1)
	s_or_b32 exec_lo, exec_lo, s8
	ds_store_b32 v24, v1 offset:1024
	s_waitcnt lgkmcnt(0)
	s_barrier
	buffer_gl0_inv
	s_and_saveexec_b32 s7, s0
	s_cbranch_execz .LBB3_234
; %bb.233:                              ;   in Loop: Header=BB3_23 Depth=2
	ds_load_b32 v15, v24 offset:1536
	s_waitcnt lgkmcnt(0)
	v_add_f32_e32 v1, v1, v15
.LBB3_234:                              ;   in Loop: Header=BB3_23 Depth=2
	s_or_b32 exec_lo, exec_lo, s7
	s_barrier
	buffer_gl0_inv
	s_and_saveexec_b32 s7, s0
	s_cbranch_execz .LBB3_236
; %bb.235:                              ;   in Loop: Header=BB3_23 Depth=2
	ds_store_b32 v24, v1 offset:1024
.LBB3_236:                              ;   in Loop: Header=BB3_23 Depth=2
	s_or_b32 exec_lo, exec_lo, s7
	s_waitcnt lgkmcnt(0)
	s_barrier
	buffer_gl0_inv
	s_and_saveexec_b32 s7, s1
	s_cbranch_execz .LBB3_238
; %bb.237:                              ;   in Loop: Header=BB3_23 Depth=2
	ds_load_b32 v15, v24 offset:1280
	s_waitcnt lgkmcnt(0)
	v_add_f32_e32 v1, v1, v15
.LBB3_238:                              ;   in Loop: Header=BB3_23 Depth=2
	s_or_b32 exec_lo, exec_lo, s7
	s_barrier
	buffer_gl0_inv
	s_and_saveexec_b32 s7, s1
	s_cbranch_execz .LBB3_240
; %bb.239:                              ;   in Loop: Header=BB3_23 Depth=2
	ds_store_b32 v24, v1 offset:1024
.LBB3_240:                              ;   in Loop: Header=BB3_23 Depth=2
	s_or_b32 exec_lo, exec_lo, s7
	s_waitcnt lgkmcnt(0)
	s_barrier
	buffer_gl0_inv
	s_and_saveexec_b32 s7, s3
	s_cbranch_execz .LBB3_242
; %bb.241:                              ;   in Loop: Header=BB3_23 Depth=2
	v_add_nc_u32_e32 v1, 0x400, v24
	ds_load_2addr_b32 v[15:16], v1 offset1:32
	s_waitcnt lgkmcnt(0)
	v_add_f32_e32 v15, v15, v16
	ds_store_b32 v24, v15 offset:1024
	s_waitcnt lgkmcnt(0)
	buffer_gl1_inv
	buffer_gl0_inv
	ds_load_2addr_b32 v[15:16], v1 offset1:16
	s_waitcnt lgkmcnt(0)
	v_add_f32_e32 v15, v15, v16
	ds_store_b32 v24, v15 offset:1024
	s_waitcnt lgkmcnt(0)
	buffer_gl1_inv
	buffer_gl0_inv
	;; [unrolled: 7-line block ×4, first 2 shown]
	ds_load_2addr_b32 v[15:16], v1 offset1:2
	s_waitcnt lgkmcnt(0)
	v_add_f32_e32 v1, v15, v16
	v_add_nc_u32_e32 v15, 0x400, v24
	ds_store_b32 v24, v1 offset:1024
	s_waitcnt lgkmcnt(0)
	buffer_gl1_inv
	buffer_gl0_inv
	ds_load_2addr_b32 v[15:16], v15 offset1:1
	s_waitcnt lgkmcnt(0)
	v_add_f32_e32 v1, v15, v16
	ds_store_b32 v24, v1 offset:1024
	s_waitcnt lgkmcnt(0)
	buffer_gl1_inv
	buffer_gl0_inv
.LBB3_242:                              ;   in Loop: Header=BB3_23 Depth=2
	s_or_b32 exec_lo, exec_lo, s7
	s_and_saveexec_b32 s8, s2
	s_cbranch_execz .LBB3_244
; %bb.243:                              ;   in Loop: Header=BB3_23 Depth=2
	ds_load_b32 v1, v29 offset:1024
	s_waitcnt lgkmcnt(0)
	v_mul_f32_e32 v15, 0x4f800000, v1
	v_cmp_gt_f32_e32 vcc_lo, 0xf800000, v1
	s_delay_alu instid0(VALU_DEP_2) | instskip(NEXT) | instid1(VALU_DEP_1)
	v_cndmask_b32_e32 v1, v1, v15, vcc_lo
	v_sqrt_f32_e32 v15, v1
	s_waitcnt_depctr 0xfff
	v_add_nc_u32_e32 v16, -1, v15
	v_add_nc_u32_e32 v17, 1, v15
	s_delay_alu instid0(VALU_DEP_2) | instskip(NEXT) | instid1(VALU_DEP_2)
	v_fma_f32 v18, -v16, v15, v1
	v_fma_f32 v19, -v17, v15, v1
	s_delay_alu instid0(VALU_DEP_2) | instskip(NEXT) | instid1(VALU_DEP_1)
	v_cmp_ge_f32_e64 s7, 0, v18
	v_cndmask_b32_e64 v15, v15, v16, s7
	s_delay_alu instid0(VALU_DEP_3) | instskip(NEXT) | instid1(VALU_DEP_1)
	v_cmp_lt_f32_e64 s7, 0, v19
	v_cndmask_b32_e64 v15, v15, v17, s7
	s_delay_alu instid0(VALU_DEP_1) | instskip(NEXT) | instid1(VALU_DEP_1)
	v_mul_f32_e32 v16, 0x37800000, v15
	v_cndmask_b32_e32 v15, v15, v16, vcc_lo
	v_cmp_class_f32_e64 vcc_lo, v1, 0x260
	s_delay_alu instid0(VALU_DEP_2)
	v_cndmask_b32_e32 v1, v15, v1, vcc_lo
	ds_store_b32 v29, v1 offset:1024
.LBB3_244:                              ;   in Loop: Header=BB3_23 Depth=2
	s_or_b32 exec_lo, exec_lo, s8
	s_waitcnt lgkmcnt(0)
	s_barrier
	buffer_gl0_inv
	ds_load_2addr_stride64_b32 v[15:16], v29 offset0:4 offset1:8
	s_waitcnt lgkmcnt(0)
	v_ashrrev_i32_e32 v17, 31, v16
	s_delay_alu instid0(VALU_DEP_1) | instskip(NEXT) | instid1(VALU_DEP_1)
	v_lshlrev_b64 v[16:17], 2, v[16:17]
	v_add_co_u32 v16, vcc_lo, s95, v16
	s_delay_alu instid0(VALU_DEP_2)
	v_add_co_ci_u32_e32 v17, vcc_lo, s96, v17, vcc_lo
	global_load_b32 v1, v[16:17], off
	s_waitcnt vmcnt(0)
	s_barrier
	buffer_gl0_inv
	s_and_saveexec_b32 s8, s5
	s_cbranch_execz .LBB3_247
; %bb.245:                              ;   in Loop: Header=BB3_23 Depth=2
	v_cmp_nle_f32_e32 vcc_lo, 0, v1
	s_mov_b32 s9, 0
	v_cndmask_b32_e64 v1, 1.0, -1.0, vcc_lo
	s_delay_alu instid0(VALU_DEP_1) | instskip(SKIP_1) | instid1(VALU_DEP_2)
	v_div_scale_f32 v16, null, v15, v15, v1
	v_div_scale_f32 v19, vcc_lo, v1, v15, v1
	v_rcp_f32_e32 v17, v16
	s_waitcnt_depctr 0xfff
	v_fma_f32 v18, -v16, v17, 1.0
	s_delay_alu instid0(VALU_DEP_1) | instskip(NEXT) | instid1(VALU_DEP_1)
	v_fmac_f32_e32 v17, v18, v17
	v_mul_f32_e32 v18, v19, v17
	s_delay_alu instid0(VALU_DEP_1) | instskip(NEXT) | instid1(VALU_DEP_1)
	v_fma_f32 v20, -v16, v18, v19
	v_fmac_f32_e32 v18, v20, v17
	s_delay_alu instid0(VALU_DEP_1) | instskip(NEXT) | instid1(VALU_DEP_1)
	v_fma_f32 v16, -v16, v18, v19
	v_div_fmas_f32 v18, v16, v17, v18
	v_dual_mov_b32 v17, v4 :: v_dual_mov_b32 v16, v3
	s_delay_alu instid0(VALU_DEP_2)
	v_div_fixup_f32 v1, v18, v15, v1
	v_mov_b32_e32 v15, v0
.LBB3_246:                              ;   Parent Loop BB3_12 Depth=1
                                        ;     Parent Loop BB3_23 Depth=2
                                        ; =>    This Inner Loop Header: Depth=3
	global_load_b32 v18, v[16:17], off
	s_waitcnt vmcnt(0)
	v_dual_mul_f32 v18, v1, v18 :: v_dual_add_nc_u32 v15, 0x100, v15
	s_delay_alu instid0(VALU_DEP_1) | instskip(SKIP_2) | instid1(VALU_DEP_1)
	v_cmp_lt_i32_e32 vcc_lo, s58, v15
	global_store_b32 v[16:17], v18, off
	v_add_co_u32 v16, s7, 0x400, v16
	v_add_co_ci_u32_e64 v17, s7, 0, v17, s7
	s_or_b32 s9, vcc_lo, s9
	s_delay_alu instid0(SALU_CYCLE_1)
	s_and_not1_b32 exec_lo, exec_lo, s9
	s_cbranch_execnz .LBB3_246
.LBB3_247:                              ;   in Loop: Header=BB3_23 Depth=2
	s_or_b32 exec_lo, exec_lo, s8
	s_waitcnt_vscnt null, 0x0
	s_barrier
.LBB3_248:                              ;   in Loop: Header=BB3_23 Depth=2
	s_waitcnt vmcnt(0)
	s_waitcnt_vscnt null, 0x0
	buffer_gl0_inv
	s_and_saveexec_b32 s8, s4
	s_cbranch_execz .LBB3_22
; %bb.249:                              ;   in Loop: Header=BB3_23 Depth=2
	v_dual_mov_b32 v16, v14 :: v_dual_mov_b32 v15, v13
	v_mov_b32_e32 v17, v0
	s_mov_b32 s9, 0
	s_set_inst_prefetch_distance 0x1
	s_branch .LBB3_251
	.p2align	6
.LBB3_250:                              ;   in Loop: Header=BB3_251 Depth=3
	s_or_b32 exec_lo, exec_lo, s7
	v_add_nc_u32_e32 v18, s27, v17
	v_add_nc_u32_e32 v17, 0x100, v17
	s_delay_alu instid0(VALU_DEP_2) | instskip(NEXT) | instid1(VALU_DEP_2)
	v_ashrrev_i32_e32 v19, 31, v18
	v_cmp_le_i32_e32 vcc_lo, s24, v17
	s_delay_alu instid0(VALU_DEP_2) | instskip(SKIP_1) | instid1(VALU_DEP_1)
	v_lshlrev_b64 v[18:19], 3, v[18:19]
	s_or_b32 s9, vcc_lo, s9
	v_add_co_u32 v18, s7, s10, v18
	s_delay_alu instid0(VALU_DEP_1) | instskip(SKIP_1) | instid1(VALU_DEP_1)
	v_add_co_ci_u32_e64 v19, s7, s88, v19, s7
	v_add_co_u32 v15, s7, 0x400, v15
	v_add_co_ci_u32_e64 v16, s7, 0, v16, s7
	s_waitcnt vmcnt(0)
	global_store_b64 v[18:19], v[1:2], off
	s_and_not1_b32 exec_lo, exec_lo, s9
	s_cbranch_execz .LBB3_22
.LBB3_251:                              ;   Parent Loop BB3_12 Depth=1
                                        ;     Parent Loop BB3_23 Depth=2
                                        ; =>    This Inner Loop Header: Depth=3
	s_delay_alu instid0(VALU_DEP_1) | instskip(SKIP_2) | instid1(VALU_DEP_2)
	v_cmp_le_i32_e32 vcc_lo, s54, v17
	v_cmp_gt_i32_e64 s7, s56, v17
	v_mov_b32_e32 v1, 0
	s_and_b32 s22, vcc_lo, s7
	s_delay_alu instid0(SALU_CYCLE_1)
	s_and_saveexec_b32 s7, s22
	s_cbranch_execz .LBB3_250
; %bb.252:                              ;   in Loop: Header=BB3_251 Depth=3
	global_load_b32 v1, v[15:16], off
	s_branch .LBB3_250
.LBB3_253:
	s_and_saveexec_b32 s0, s2
	s_cbranch_execz .LBB3_255
; %bb.254:
	v_mov_b32_e32 v0, 0
	v_readlane_b32 s4, v44, 2
	v_readlane_b32 s10, v44, 8
	;; [unrolled: 1-line block ×4, first 2 shown]
	ds_load_b32 v1, v0
	v_readlane_b32 s1, v44, 1
	v_readlane_b32 s6, v44, 4
	;; [unrolled: 1-line block ×3, first 2 shown]
	s_mov_b64 s[6:7], s[10:11]
	v_readlane_b32 s5, v44, 3
	s_add_u32 s0, s6, s0
	s_addc_u32 s1, s7, s1
	v_readlane_b32 s8, v44, 6
	v_readlane_b32 s9, v44, 7
	s_waitcnt lgkmcnt(0)
	global_store_b32 v0, v1, s[0:1]
.LBB3_255:
	s_endpgm
	.section	.rodata,"a",@progbits
	.p2align	6, 0x0
	.amdhsa_kernel _ZN9rocsolver6v33100L12stein_kernelI19rocblas_complex_numIfEfPS3_EEviPT0_lS6_lPiS6_lS7_lS7_lT1_iilS7_lS7_S6_S7_S5_S5_
		.amdhsa_group_segment_fixed_size 8
		.amdhsa_private_segment_fixed_size 0
		.amdhsa_kernarg_size 168
		.amdhsa_user_sgpr_count 14
		.amdhsa_user_sgpr_dispatch_ptr 0
		.amdhsa_user_sgpr_queue_ptr 0
		.amdhsa_user_sgpr_kernarg_segment_ptr 1
		.amdhsa_user_sgpr_dispatch_id 0
		.amdhsa_user_sgpr_private_segment_size 0
		.amdhsa_wavefront_size32 1
		.amdhsa_uses_dynamic_stack 0
		.amdhsa_enable_private_segment 0
		.amdhsa_system_sgpr_workgroup_id_x 1
		.amdhsa_system_sgpr_workgroup_id_y 1
		.amdhsa_system_sgpr_workgroup_id_z 0
		.amdhsa_system_sgpr_workgroup_info 0
		.amdhsa_system_vgpr_workitem_id 0
		.amdhsa_next_free_vgpr 45
		.amdhsa_next_free_sgpr 105
		.amdhsa_reserve_vcc 1
		.amdhsa_float_round_mode_32 0
		.amdhsa_float_round_mode_16_64 0
		.amdhsa_float_denorm_mode_32 3
		.amdhsa_float_denorm_mode_16_64 3
		.amdhsa_dx10_clamp 1
		.amdhsa_ieee_mode 1
		.amdhsa_fp16_overflow 0
		.amdhsa_workgroup_processor_mode 1
		.amdhsa_memory_ordered 1
		.amdhsa_forward_progress 0
		.amdhsa_shared_vgpr_count 0
		.amdhsa_exception_fp_ieee_invalid_op 0
		.amdhsa_exception_fp_denorm_src 0
		.amdhsa_exception_fp_ieee_div_zero 0
		.amdhsa_exception_fp_ieee_overflow 0
		.amdhsa_exception_fp_ieee_underflow 0
		.amdhsa_exception_fp_ieee_inexact 0
		.amdhsa_exception_int_div_zero 0
	.end_amdhsa_kernel
	.section	.text._ZN9rocsolver6v33100L12stein_kernelI19rocblas_complex_numIfEfPS3_EEviPT0_lS6_lPiS6_lS7_lS7_lT1_iilS7_lS7_S6_S7_S5_S5_,"axG",@progbits,_ZN9rocsolver6v33100L12stein_kernelI19rocblas_complex_numIfEfPS3_EEviPT0_lS6_lPiS6_lS7_lS7_lT1_iilS7_lS7_S6_S7_S5_S5_,comdat
.Lfunc_end3:
	.size	_ZN9rocsolver6v33100L12stein_kernelI19rocblas_complex_numIfEfPS3_EEviPT0_lS6_lPiS6_lS7_lS7_lT1_iilS7_lS7_S6_S7_S5_S5_, .Lfunc_end3-_ZN9rocsolver6v33100L12stein_kernelI19rocblas_complex_numIfEfPS3_EEviPT0_lS6_lPiS6_lS7_lS7_lT1_iilS7_lS7_S6_S7_S5_S5_
                                        ; -- End function
	.section	.AMDGPU.csdata,"",@progbits
; Kernel info:
; codeLenInByte = 11096
; NumSgprs: 107
; NumVgprs: 45
; ScratchSize: 0
; MemoryBound: 0
; FloatMode: 240
; IeeeMode: 1
; LDSByteSize: 8 bytes/workgroup (compile time only)
; SGPRBlocks: 13
; VGPRBlocks: 5
; NumSGPRsForWavesPerEU: 107
; NumVGPRsForWavesPerEU: 45
; Occupancy: 16
; WaveLimiterHint : 1
; COMPUTE_PGM_RSRC2:SCRATCH_EN: 0
; COMPUTE_PGM_RSRC2:USER_SGPR: 14
; COMPUTE_PGM_RSRC2:TRAP_HANDLER: 0
; COMPUTE_PGM_RSRC2:TGID_X_EN: 1
; COMPUTE_PGM_RSRC2:TGID_Y_EN: 1
; COMPUTE_PGM_RSRC2:TGID_Z_EN: 0
; COMPUTE_PGM_RSRC2:TIDIG_COMP_CNT: 0
	.section	.text._ZN9rocsolver6v33100L12stein_kernelI19rocblas_complex_numIdEdPS3_EEviPT0_lS6_lPiS6_lS7_lS7_lT1_iilS7_lS7_S6_S7_S5_S5_,"axG",@progbits,_ZN9rocsolver6v33100L12stein_kernelI19rocblas_complex_numIdEdPS3_EEviPT0_lS6_lPiS6_lS7_lS7_lT1_iilS7_lS7_S6_S7_S5_S5_,comdat
	.globl	_ZN9rocsolver6v33100L12stein_kernelI19rocblas_complex_numIdEdPS3_EEviPT0_lS6_lPiS6_lS7_lS7_lT1_iilS7_lS7_S6_S7_S5_S5_ ; -- Begin function _ZN9rocsolver6v33100L12stein_kernelI19rocblas_complex_numIdEdPS3_EEviPT0_lS6_lPiS6_lS7_lS7_lT1_iilS7_lS7_S6_S7_S5_S5_
	.p2align	8
	.type	_ZN9rocsolver6v33100L12stein_kernelI19rocblas_complex_numIdEdPS3_EEviPT0_lS6_lPiS6_lS7_lS7_lT1_iilS7_lS7_S6_S7_S5_S5_,@function
_ZN9rocsolver6v33100L12stein_kernelI19rocblas_complex_numIdEdPS3_EEviPT0_lS6_lPiS6_lS7_lS7_lT1_iilS7_lS7_S6_S7_S5_S5_: ; @_ZN9rocsolver6v33100L12stein_kernelI19rocblas_complex_numIdEdPS3_EEviPT0_lS6_lPiS6_lS7_lS7_lT1_iilS7_lS7_S6_S7_S5_S5_
; %bb.0:
	s_load_b512 s[36:51], s[0:1], 0x8
	s_mov_b32 s52, s15
	s_ashr_i32 s53, s15, 31
	s_delay_alu instid0(SALU_CYCLE_1)
	s_lshl_b64 s[4:5], s[52:53], 2
	s_waitcnt lgkmcnt(0)
	s_add_u32 s2, s44, s4
	s_addc_u32 s3, s45, s5
	s_load_b32 s30, s[2:3], 0x0
	s_waitcnt lgkmcnt(0)
	s_cmp_lt_i32 s30, 1
	s_cbranch_scc1 .LBB4_258
; %bb.1:
                                        ; implicit-def: $vgpr62 : SGPR spill to VGPR lane
	s_mov_b64 s[34:35], 0
	v_writelane_b32 v62, s4, 0
	v_writelane_b32 v62, s5, 1
	s_load_b512 s[4:19], s[0:1], 0x70
	s_waitcnt lgkmcnt(0)
	s_cmp_eq_u64 s[6:7], 0
	s_cbranch_scc1 .LBB4_3
; %bb.2:
	s_mul_i32 s2, s52, s9
	s_mul_hi_u32 s3, s52, s8
	s_mul_i32 s9, s53, s8
	s_add_i32 s2, s3, s2
	s_delay_alu instid0(SALU_CYCLE_1) | instskip(SKIP_1) | instid1(SALU_CYCLE_1)
	s_add_i32 s3, s2, s9
	s_mul_i32 s2, s52, s8
	s_lshl_b64 s[2:3], s[2:3], 2
	s_delay_alu instid0(SALU_CYCLE_1)
	s_add_u32 s34, s6, s2
	s_addc_u32 s35, s7, s3
.LBB4_3:
	v_cmp_eq_u32_e64 s2, 0, v0
	s_delay_alu instid0(VALU_DEP_1)
	s_and_saveexec_b32 s3, s2
	s_cbranch_execz .LBB4_5
; %bb.4:
	v_mov_b32_e32 v1, 0
	ds_store_b32 v1, v1
.LBB4_5:
	s_or_b32 exec_lo, exec_lo, s3
	v_cmp_gt_u32_e32 vcc_lo, s30, v0
	s_cmp_lg_u64 s[34:35], 0
	v_lshlrev_b32_e32 v48, 2, v0
	s_cselect_b32 s8, -1, 0
	s_delay_alu instid0(SALU_CYCLE_1) | instskip(NEXT) | instid1(SALU_CYCLE_1)
	s_and_b32 s3, vcc_lo, s8
	s_and_saveexec_b32 s6, s3
	s_cbranch_execz .LBB4_8
; %bb.6:
	v_add_co_u32 v1, s3, s34, v48
	v_dual_mov_b32 v3, 0 :: v_dual_mov_b32 v4, v0
	v_add_co_ci_u32_e64 v2, null, s35, 0, s3
	s_mov_b32 s7, 0
.LBB4_7:                                ; =>This Inner Loop Header: Depth=1
	s_delay_alu instid0(VALU_DEP_2) | instskip(SKIP_2) | instid1(VALU_DEP_1)
	v_add_nc_u32_e32 v4, 0x100, v4
	flat_store_b32 v[1:2], v3
	v_add_co_u32 v1, s3, 0x400, v1
	v_add_co_ci_u32_e64 v2, s3, 0, v2, s3
	v_cmp_le_i32_e32 vcc_lo, s30, v4
	s_or_b32 s7, vcc_lo, s7
	s_delay_alu instid0(SALU_CYCLE_1)
	s_and_not1_b32 exec_lo, exec_lo, s7
	s_cbranch_execnz .LBB4_7
.LBB4_8:
	s_or_b32 exec_lo, exec_lo, s6
	s_load_b256 s[20:27], s[0:1], 0x48
	s_mov_b32 s9, 0
	v_mov_b32_e32 v3, 0
	s_mov_b32 s31, s9
	s_waitcnt lgkmcnt(0)
	s_mul_i32 s3, s52, s21
	s_mul_hi_u32 s6, s52, s20
	s_mul_i32 s7, s53, s20
	s_add_i32 s3, s6, s3
	s_mul_i32 s6, s52, s20
	s_add_i32 s7, s3, s7
	s_delay_alu instid0(SALU_CYCLE_1) | instskip(NEXT) | instid1(SALU_CYCLE_1)
	s_lshl_b64 s[6:7], s[6:7], 2
	s_add_u32 s33, s50, s6
	s_addc_u32 s100, s51, s7
	s_lshl_b64 s[6:7], s[30:31], 2
	s_delay_alu instid0(SALU_CYCLE_1)
	s_add_u32 s6, s33, s6
	s_addc_u32 s7, s100, s7
	v_writelane_b32 v62, s6, 2
	global_load_b32 v4, v3, s[6:7] offset:-4
	v_writelane_b32 v62, s7, 3
	s_waitcnt vmcnt(0)
	v_cmp_gt_i32_e32 vcc_lo, 1, v4
	s_cbranch_vccnz .LBB4_256
; %bb.9:
	v_div_scale_f64 v[1:2], null, s[18:19], s[18:19], 1.0
	v_div_scale_f64 v[9:10], vcc_lo, 1.0, s[18:19], 1.0
	s_mul_hi_u32 s7, s52, s38
	s_mul_i32 s21, s53, s38
	s_mul_i32 s6, s52, s38
	s_load_b32 s38, s[0:1], 0x0
	s_mul_i32 s3, s52, s39
	s_mul_i32 s29, s52, s43
	s_add_i32 s3, s7, s3
	s_mul_hi_u32 s43, s52, s42
	s_add_i32 s7, s3, s21
	s_mul_i32 s44, s53, s42
	s_lshl_b64 s[6:7], s[6:7], 3
	s_mul_i32 s20, s52, s42
	s_mul_i32 s45, s52, s49
	s_mul_hi_u32 s49, s52, s48
	s_mul_i32 s50, s53, s48
	s_mul_i32 s28, s52, s48
	;; [unrolled: 1-line block ×3, first 2 shown]
	s_mul_hi_u32 s51, s52, s24
	s_mul_i32 s54, s53, s24
	s_mul_i32 s42, s52, s24
	s_load_b64 s[24:25], s[0:1], 0x68
	s_mul_i32 s5, s52, s5
	s_mul_hi_u32 s55, s52, s4
	s_waitcnt lgkmcnt(0)
	s_ashr_i32 s39, s38, 31
	s_add_u32 s31, s36, s6
	s_addc_u32 s101, s37, s7
	s_add_i32 s6, s43, s29
	s_mul_i32 s53, s53, s4
	s_add_i32 s21, s6, s44
	s_mul_i32 s44, s38, 5
	s_lshl_b64 s[6:7], s[20:21], 3
	s_mul_hi_i32 s21, s38, s52
	s_add_u32 s102, s40, s6
	s_addc_u32 s103, s41, s7
	s_delay_alu instid0(VALU_DEP_2)
	v_rcp_f64_e32 v[5:6], v[1:2]
	s_add_i32 s6, s49, s45
	s_mul_i32 s20, s38, s52
	s_add_i32 s29, s6, s50
	s_mul_i32 s4, s52, s4
	s_lshl_b64 s[6:7], s[28:29], 3
	s_mov_b32 s28, s24
	s_add_u32 s104, s46, s6
	s_addc_u32 vcc_hi, s47, s7
	s_add_i32 s6, s51, s48
	s_mul_hi_i32 s7, s44, s52
	s_add_i32 s43, s6, s54
	s_mul_i32 s6, s44, s52
	s_lshl_b64 s[36:37], s[42:43], 2
	s_mul_i32 s50, s38, 3
	s_add_u32 s73, s22, s36
	s_addc_u32 s54, s23, s37
	s_lshl_b64 s[48:49], s[6:7], 3
	v_dual_mov_b32 v52, 1 :: v_dual_lshlrev_b32 v15, 3, v0
	s_add_u32 s22, s12, s48
	s_addc_u32 s23, s13, s49
	s_lshl_b64 s[20:21], s[20:21], 2
	s_mul_i32 s37, s38, 0xffffffe8
	s_add_u32 s14, s14, s20
	s_addc_u32 s15, s15, s21
	s_add_i32 s5, s55, s5
	s_ashr_i32 s29, s24, 31
	s_add_i32 s5, s5, s53
	s_mul_hi_i32 s36, s38, 0xffffffe8
	s_lshl_b64 s[4:5], s[4:5], 4
	v_dual_mov_b32 v53, 0x3ff00000 :: v_dual_add_nc_u32 v50, 8, v15
	s_add_u32 s24, s26, s4
	s_addc_u32 s5, s27, s5
	s_lshl_b64 s[20:21], s[28:29], 4
	v_cmp_gt_u32_e64 s0, 0x80, v0
	s_add_u32 s24, s24, s20
	s_addc_u32 s60, s5, s21
	s_ashr_i32 s51, s50, 31
	s_waitcnt_depctr 0xfff
	v_fma_f64 v[7:8], -v[1:2], v[5:6], 1.0
	s_lshl_b64 s[20:21], s[50:51], 3
	v_add3_u32 v49, 8, 0x1000, v48
	s_add_u32 s26, s22, s20
	s_addc_u32 s27, s23, s21
	s_lshl_b64 s[28:29], s[38:39], 4
	v_cmp_gt_u32_e64 s1, 64, v0
	s_sub_u32 s40, s26, s28
	s_subb_u32 s41, s27, s29
	s_lshl_b64 s[52:53], s[38:39], 3
	v_cmp_gt_u32_e64 s3, 32, v0
	s_add_u32 s42, s40, s52
	s_addc_u32 s43, s41, s53
	s_add_u32 s44, s42, s28
	s_addc_u32 s45, s43, s29
	v_sub_nc_u32_e32 v51, v50, v48
	v_cmp_gt_i32_e64 s4, s38, v0
	s_mov_b32 s64, 0xff800000
	s_mov_b32 s65, 0x41dfffff
	;; [unrolled: 1-line block ×3, first 2 shown]
                                        ; implicit-def: $vgpr18_vgpr19
                                        ; implicit-def: $vgpr22_vgpr23
                                        ; implicit-def: $vgpr24_vgpr25
                                        ; implicit-def: $sgpr63
                                        ; implicit-def: $vgpr20_vgpr21
	v_mov_b32_e32 v54, 8
	v_fma_f64 v[5:6], v[5:6], v[7:8], v[5:6]
	s_delay_alu instid0(VALU_DEP_1) | instskip(NEXT) | instid1(VALU_DEP_1)
	v_fma_f64 v[7:8], -v[1:2], v[5:6], 1.0
	v_fma_f64 v[5:6], v[5:6], v[7:8], v[5:6]
	v_max_f64 v[7:8], s[16:17], s[16:17]
	s_delay_alu instid0(VALU_DEP_2) | instskip(NEXT) | instid1(VALU_DEP_1)
	v_mul_f64 v[11:12], v[9:10], v[5:6]
	v_fma_f64 v[1:2], -v[1:2], v[11:12], v[9:10]
	v_add_nc_u32_e32 v9, s38, v0
	s_delay_alu instid0(VALU_DEP_1) | instskip(NEXT) | instid1(VALU_DEP_1)
	v_ashrrev_i32_e32 v10, 31, v9
	v_lshlrev_b64 v[13:14], 3, v[9:10]
	v_add_co_u32 v10, s5, s22, v15
	v_max_f64 v[8:9], v[7:8], 0
	v_div_fmas_f64 v[1:2], v[1:2], v[5:6], v[11:12]
	v_add_co_ci_u32_e64 v11, null, s23, 0, s5
	s_add_u32 s5, s44, s37
	s_addc_u32 s36, s45, s36
	s_add_u32 s46, s5, 8
	s_addc_u32 s47, s36, 0
	s_and_b32 s61, s2, s8
	s_add_u32 s5, s73, -4
	v_add_co_u32 v5, vcc_lo, s22, v13
	v_writelane_b32 v62, s5, 4
	s_addc_u32 s5, s54, -1
	s_add_u32 s78, s31, -8
	s_addc_u32 s79, s101, -1
	v_add_co_ci_u32_e32 v6, vcc_lo, s23, v14, vcc_lo
	v_writelane_b32 v62, s54, 5
	v_add_co_u32 v16, vcc_lo, v5, 8
	s_delay_alu instid0(VALU_DEP_3) | instskip(SKIP_2) | instid1(SALU_CYCLE_1)
	v_add_co_ci_u32_e32 v17, vcc_lo, 0, v6, vcc_lo
	v_writelane_b32 v62, s5, 6
	s_add_u32 s5, s102, -16
	v_writelane_b32 v62, s5, 7
	s_addc_u32 s5, s103, -1
	s_add_u32 s36, s22, -8
	s_addc_u32 s37, s23, -1
	v_writelane_b32 v62, s5, 8
	s_add_u32 s5, s102, 8
	s_delay_alu instid0(SALU_CYCLE_1) | instskip(SKIP_1) | instid1(SALU_CYCLE_1)
	v_writelane_b32 v62, s5, 9
	s_addc_u32 s5, s103, 0
	v_writelane_b32 v62, s5, 10
	s_add_u32 s5, s31, 8
	s_delay_alu instid0(SALU_CYCLE_1) | instskip(SKIP_1) | instid1(SALU_CYCLE_1)
	v_writelane_b32 v62, s5, 11
	s_addc_u32 s5, s101, 0
	v_writelane_b32 v62, s5, 12
	s_add_u32 s5, s48, s20
	s_addc_u32 s8, s49, s21
	s_add_u32 s56, s5, s12
	s_addc_u32 s57, s8, s13
	v_add_co_u32 v12, s20, s56, v15
	v_div_fixup_f64 v[14:15], v[1:2], s[18:19], 1.0
	s_lshl_b32 s62, s38, 1
	s_sub_u32 s48, s5, s28
	s_subb_u32 s49, s8, s29
	s_add_u32 s6, s6, s50
	v_writelane_b32 v62, s50, 13
	s_addc_u32 s7, s7, s51
	v_add_co_ci_u32_e64 v13, null, s57, 0, s20
	s_add_u32 s20, s6, s38
	s_addc_u32 s21, s7, s39
	v_writelane_b32 v62, s51, 14
	s_lshl_b64 s[6:7], s[6:7], 3
	s_lshl_b64 s[50:51], s[20:21], 3
	s_sub_u32 s52, s6, s52
	s_subb_u32 s53, s7, s53
	s_add_u32 s54, s5, 8
	s_addc_u32 s55, s8, 0
	v_writelane_b32 v62, s73, 15
	s_add_u32 s56, s56, 16
	s_addc_u32 s57, s57, 0
	s_sub_u32 s5, s6, s28
	s_subb_u32 s6, s7, s29
	s_add_u32 s5, s5, s12
	v_writelane_b32 v62, s78, 16
	s_addc_u32 s6, s6, s13
	s_add_u32 s58, s5, 16
	s_addc_u32 s59, s6, 0
	s_mov_b32 s39, 0
	v_writelane_b32 v62, s79, 17
	s_branch .LBB4_12
.LBB4_10:                               ;   in Loop: Header=BB4_12 Depth=1
	v_readlane_b32 s20, v62, 2
	v_readlane_b32 s21, v62, 3
	;; [unrolled: 1-line block ×5, first 2 shown]
	s_mov_b32 s39, s7
	global_load_b32 v4, v3, s[20:21] offset:-4
.LBB4_11:                               ;   in Loop: Header=BB4_12 Depth=1
	s_add_i32 s66, s66, 1
	s_waitcnt vmcnt(0)
	v_cmp_ge_i32_e32 vcc_lo, s66, v4
	s_cbranch_vccnz .LBB4_256
.LBB4_12:                               ; =>This Loop Header: Depth=1
                                        ;     Child Loop BB4_17 Depth 2
                                        ;     Child Loop BB4_22 Depth 2
                                        ;       Child Loop BB4_35 Depth 3
                                        ;       Child Loop BB4_38 Depth 3
	;; [unrolled: 1-line block ×4, first 2 shown]
                                        ;         Child Loop BB4_71 Depth 4
                                        ;         Child Loop BB4_110 Depth 4
	;; [unrolled: 1-line block ×5, first 2 shown]
                                        ;           Child Loop BB4_130 Depth 5
                                        ;         Child Loop BB4_143 Depth 4
                                        ;           Child Loop BB4_144 Depth 5
                                        ;           Child Loop BB4_146 Depth 5
                                        ;         Child Loop BB4_151 Depth 4
                                        ;       Child Loop BB4_194 Depth 3
                                        ;       Child Loop BB4_233 Depth 3
	;; [unrolled: 1-line block ×4, first 2 shown]
	s_mov_b32 s68, 0
	s_cmp_eq_u32 s66, 0
	s_mov_b64 s[6:7], 0
	s_cbranch_scc1 .LBB4_14
; %bb.13:                               ;   in Loop: Header=BB4_12 Depth=1
	v_readlane_b32 s5, v62, 4
	s_mov_b32 s67, s9
	s_delay_alu instid0(SALU_CYCLE_1)
	s_lshl_b64 s[6:7], s[66:67], 2
	s_delay_alu instid0(VALU_DEP_1) | instid1(SALU_CYCLE_1)
	s_add_u32 s6, s5, s6
	v_readlane_b32 s5, v62, 6
	s_delay_alu instid0(VALU_DEP_1)
	s_addc_u32 s7, s5, s7
	global_load_b32 v1, v3, s[6:7]
	s_mov_b64 s[6:7], s[66:67]
	s_waitcnt vmcnt(0)
	v_readfirstlane_b32 s68, v1
.LBB4_14:                               ;   in Loop: Header=BB4_12 Depth=1
	v_readlane_b32 s5, v62, 5
	s_lshl_b64 s[6:7], s[6:7], 2
	s_delay_alu instid0(SALU_CYCLE_1) | instskip(NEXT) | instid1(VALU_DEP_1)
	s_add_u32 s6, s73, s6
	s_addc_u32 s7, s5, s7
	s_not_b32 s5, s68
	global_load_b32 v1, v3, s[6:7]
	s_waitcnt vmcnt(0)
	v_readfirstlane_b32 s70, v1
	v_subrev_nc_u32_e32 v55, s68, v1
	s_delay_alu instid0(VALU_DEP_2) | instskip(NEXT) | instid1(SALU_CYCLE_1)
	s_add_i32 s72, s5, s70
	s_cmp_lt_i32 s72, 1
	s_cselect_b32 s67, -1, 0
	s_delay_alu instid0(SALU_CYCLE_1)
	s_and_b32 vcc_lo, exec_lo, s67
	s_cbranch_vccnz .LBB4_19
; %bb.15:                               ;   in Loop: Header=BB4_12 Depth=1
	s_ashr_i32 s69, s68, 31
	v_readlane_b32 s8, v62, 7
	s_lshl_b64 s[74:75], s[68:69], 3
	s_delay_alu instid0(SALU_CYCLE_1) | instskip(SKIP_4) | instid1(SALU_CYCLE_1)
	s_add_u32 s6, s31, s74
	s_addc_u32 s7, s101, s75
	s_add_u32 s20, s102, s74
	s_addc_u32 s21, s103, s75
	s_ashr_i32 s71, s70, 31
	s_lshl_b64 s[28:29], s[70:71], 3
	s_delay_alu instid0(SALU_CYCLE_1) | instskip(SKIP_4) | instid1(VALU_DEP_1)
	s_add_u32 s76, s78, s28
	s_addc_u32 s77, s79, s29
	s_add_i32 s5, s70, -2
	s_add_u32 s28, s8, s28
	v_readlane_b32 s8, v62, 8
	s_addc_u32 s29, s8, s29
	s_clause 0x3
	global_load_b64 v[5:6], v3, s[6:7]
	global_load_b64 v[1:2], v3, s[20:21]
	;; [unrolled: 1-line block ×4, first 2 shown]
	s_cmp_ge_i32 s68, s5
	s_waitcnt vmcnt(2)
	v_add_f64 v[5:6], |v[5:6]|, |v[1:2]|
	s_waitcnt vmcnt(0)
	v_add_f64 v[20:21], |v[20:21]|, |v[22:23]|
	s_delay_alu instid0(VALU_DEP_1)
	v_cmp_lt_f64_e32 vcc_lo, v[5:6], v[20:21]
	v_dual_cndmask_b32 v21, v6, v21 :: v_dual_cndmask_b32 v20, v5, v20
	s_cbranch_scc1 .LBB4_18
; %bb.16:                               ;   in Loop: Header=BB4_12 Depth=1
	v_readlane_b32 s6, v62, 9
	v_readlane_b32 s7, v62, 10
	v_readlane_b32 s8, v62, 11
	s_delay_alu instid0(VALU_DEP_3) | instskip(NEXT) | instid1(VALU_DEP_2)
	s_add_u32 s6, s6, s74
	s_addc_u32 s7, s7, s75
	s_delay_alu instid0(VALU_DEP_1) | instskip(SKIP_1) | instid1(VALU_DEP_1)
	s_add_u32 s74, s8, s74
	v_readlane_b32 s8, v62, 12
	s_addc_u32 s75, s8, s75
	s_mov_b32 s8, s68
	.p2align	6
.LBB4_17:                               ;   Parent Loop BB4_12 Depth=1
                                        ; =>  This Inner Loop Header: Depth=2
	global_load_b64 v[5:6], v3, s[74:75]
	s_add_i32 s8, s8, 1
	s_waitcnt vmcnt(0)
	v_add_f64 v[5:6], |v[1:2]|, |v[5:6]|
	global_load_b64 v[1:2], v3, s[6:7]
	s_add_u32 s6, s6, 8
	s_addc_u32 s7, s7, 0
	s_add_u32 s74, s74, 8
	s_addc_u32 s75, s75, 0
	s_cmp_lt_i32 s8, s5
	s_waitcnt vmcnt(0)
	v_add_f64 v[5:6], v[5:6], |v[1:2]|
	s_delay_alu instid0(VALU_DEP_1)
	v_cmp_lt_f64_e32 vcc_lo, v[20:21], v[5:6]
	v_dual_cndmask_b32 v21, v21, v6 :: v_dual_cndmask_b32 v20, v20, v5
	s_cbranch_scc1 .LBB4_17
.LBB4_18:                               ;   in Loop: Header=BB4_12 Depth=1
	v_cvt_f64_u32_e32 v[1:2], v55
	s_mov_b32 s6, 0x9999999a
	s_mov_b32 s7, 0x3fb99999
	;; [unrolled: 1-line block ×3, first 2 shown]
	s_delay_alu instid0(VALU_DEP_1) | instskip(SKIP_1) | instid1(VALU_DEP_2)
	v_div_scale_f64 v[5:6], null, v[1:2], v[1:2], s[6:7]
	v_div_scale_f64 v[26:27], vcc_lo, s[6:7], v[1:2], s[6:7]
	v_rcp_f64_e32 v[22:23], v[5:6]
	s_waitcnt_depctr 0xfff
	v_fma_f64 v[24:25], -v[5:6], v[22:23], 1.0
	s_delay_alu instid0(VALU_DEP_1) | instskip(NEXT) | instid1(VALU_DEP_1)
	v_fma_f64 v[22:23], v[22:23], v[24:25], v[22:23]
	v_fma_f64 v[24:25], -v[5:6], v[22:23], 1.0
	s_delay_alu instid0(VALU_DEP_1) | instskip(NEXT) | instid1(VALU_DEP_1)
	v_fma_f64 v[22:23], v[22:23], v[24:25], v[22:23]
	v_mul_f64 v[24:25], v[26:27], v[22:23]
	s_delay_alu instid0(VALU_DEP_1) | instskip(NEXT) | instid1(VALU_DEP_1)
	v_fma_f64 v[5:6], -v[5:6], v[24:25], v[26:27]
	v_div_fmas_f64 v[5:6], v[5:6], v[22:23], v[24:25]
	s_delay_alu instid0(VALU_DEP_1) | instskip(SKIP_2) | instid1(VALU_DEP_1)
	v_div_fixup_f64 v[1:2], v[5:6], v[1:2], s[6:7]
	s_mov_b32 s6, 0xd2f1a9fc
	s_mov_b32 s7, 0x3f50624d
	v_cmp_gt_f64_e32 vcc_lo, 0x10000000, v[1:2]
	v_cndmask_b32_e64 v5, 0, 1, vcc_lo
	s_and_b32 s5, vcc_lo, exec_lo
	s_cselect_b32 s5, 0xffffff80, 0
	s_delay_alu instid0(VALU_DEP_1) | instskip(NEXT) | instid1(VALU_DEP_1)
	v_lshlrev_b32_e32 v5, 8, v5
	v_ldexp_f64 v[1:2], v[1:2], v5
	s_delay_alu instid0(VALU_DEP_1) | instskip(SKIP_4) | instid1(VALU_DEP_1)
	v_rsq_f64_e32 v[5:6], v[1:2]
	v_cmp_class_f64_e64 vcc_lo, v[1:2], 0x260
	s_waitcnt_depctr 0xfff
	v_mul_f64 v[22:23], v[1:2], v[5:6]
	v_mul_f64 v[5:6], v[5:6], 0.5
	v_fma_f64 v[24:25], -v[5:6], v[22:23], 0.5
	s_delay_alu instid0(VALU_DEP_1) | instskip(SKIP_1) | instid1(VALU_DEP_2)
	v_fma_f64 v[22:23], v[22:23], v[24:25], v[22:23]
	v_fma_f64 v[5:6], v[5:6], v[24:25], v[5:6]
	v_fma_f64 v[24:25], -v[22:23], v[22:23], v[1:2]
	s_delay_alu instid0(VALU_DEP_1) | instskip(NEXT) | instid1(VALU_DEP_1)
	v_fma_f64 v[22:23], v[24:25], v[5:6], v[22:23]
	v_fma_f64 v[24:25], -v[22:23], v[22:23], v[1:2]
	s_delay_alu instid0(VALU_DEP_1) | instskip(SKIP_1) | instid1(VALU_DEP_2)
	v_fma_f64 v[5:6], v[24:25], v[5:6], v[22:23]
	v_mul_f64 v[24:25], v[20:21], s[6:7]
	v_ldexp_f64 v[5:6], v[5:6], s5
	s_delay_alu instid0(VALU_DEP_1)
	v_dual_cndmask_b32 v23, v6, v2 :: v_dual_cndmask_b32 v22, v5, v1
.LBB4_19:                               ;   in Loop: Header=BB4_12 Depth=1
	s_cmp_ge_i32 s39, s30
	s_cbranch_scc1 .LBB4_11
; %bb.20:                               ;   in Loop: Header=BB4_12 Depth=1
	v_add_nc_u32_e32 v1, s68, v0
	s_ashr_i32 s71, s70, 31
	s_mov_b32 s73, s9
	s_lshl_b64 s[6:7], s[70:71], 3
	v_cmp_ge_i32_e64 s5, s72, v0
	v_ashrrev_i32_e32 v2, 31, v1
	s_add_u32 s74, s78, s6
	s_addc_u32 s75, s79, s7
	v_readlane_b32 s6, v62, 13
	v_readlane_b32 s7, v62, 14
	v_lshlrev_b64 v[1:2], 3, v[1:2]
	s_mul_i32 s71, s66, s30
	s_mov_b32 s82, s39
	s_add_i32 s6, s72, s6
	s_delay_alu instid0(SALU_CYCLE_1) | instskip(NEXT) | instid1(VALU_DEP_1)
	s_ashr_i32 s7, s6, 31
	v_add_co_u32 v26, vcc_lo, s31, v1
	v_add_co_ci_u32_e32 v27, vcc_lo, s101, v2, vcc_lo
	v_add_co_u32 v28, vcc_lo, s102, v1
	v_add_co_ci_u32_e32 v29, vcc_lo, s103, v2, vcc_lo
	v_cvt_f64_u32_e32 v[1:2], v55
	s_lshl_b64 s[6:7], s[6:7], 3
	s_delay_alu instid0(SALU_CYCLE_1) | instskip(SKIP_2) | instid1(SALU_CYCLE_1)
	s_add_u32 s76, s22, s6
	s_addc_u32 s77, s23, s7
	s_lshl_b64 s[6:7], s[72:73], 2
	s_add_u32 s78, s14, s6
	s_addc_u32 s79, s15, s7
	s_lshl_b64 s[6:7], s[72:73], 3
	s_add_i32 s73, s72, -1
	s_add_u32 s80, s26, s6
	s_addc_u32 s81, s27, s7
	s_cmp_lg_u32 s72, 1
	v_cmp_gt_i32_e64 s6, s72, v0
	s_cselect_b32 s28, -1, 0
	s_ashr_i32 s69, s68, 31
	s_sub_i32 s29, s70, s68
	s_lshl_b64 s[20:21], s[68:69], 3
	s_mul_i32 s69, s25, s39
	v_sub_co_u32 v32, vcc_lo, v10, s20
	v_subrev_co_ci_u32_e32 v33, vcc_lo, s21, v11, vcc_lo
	s_mov_b32 s20, 0
	s_delay_alu instid0(VALU_DEP_4)
	v_mul_f64 v[30:31], v[20:21], v[1:2]
	v_dual_mov_b32 v1, v18 :: v_dual_mov_b32 v2, v19
	s_branch .LBB4_22
.LBB4_21:                               ;   in Loop: Header=BB4_22 Depth=2
	s_set_inst_prefetch_distance 0x2
	s_or_b32 exec_lo, exec_lo, s21
	s_add_i32 s82, s82, 1
	s_add_i32 s20, s20, 1
	;; [unrolled: 1-line block ×3, first 2 shown]
	v_dual_mov_b32 v1, v18 :: v_dual_mov_b32 v2, v19
	s_cmp_ge_i32 s82, s30
	s_mov_b32 s7, s39
	s_cselect_b32 s8, -1, 0
	s_waitcnt_vscnt null, 0x0
	s_barrier
	buffer_gl0_inv
	s_and_b32 vcc_lo, exec_lo, s8
	s_cbranch_vccnz .LBB4_10
.LBB4_22:                               ;   Parent Loop BB4_12 Depth=1
                                        ; =>  This Loop Header: Depth=2
                                        ;       Child Loop BB4_35 Depth 3
                                        ;       Child Loop BB4_38 Depth 3
                                        ;       Child Loop BB4_44 Depth 3
                                        ;       Child Loop BB4_69 Depth 3
                                        ;         Child Loop BB4_71 Depth 4
                                        ;         Child Loop BB4_110 Depth 4
	;; [unrolled: 1-line block ×5, first 2 shown]
                                        ;           Child Loop BB4_130 Depth 5
                                        ;         Child Loop BB4_143 Depth 4
                                        ;           Child Loop BB4_144 Depth 5
                                        ;           Child Loop BB4_146 Depth 5
                                        ;         Child Loop BB4_151 Depth 4
                                        ;       Child Loop BB4_194 Depth 3
                                        ;       Child Loop BB4_233 Depth 3
                                        ;       Child Loop BB4_249 Depth 3
                                        ;       Child Loop BB4_254 Depth 3
	s_ashr_i32 s83, s82, 31
	s_delay_alu instid0(SALU_CYCLE_1) | instskip(NEXT) | instid1(SALU_CYCLE_1)
	s_lshl_b64 s[84:85], s[82:83], 2
	s_add_u32 s84, s33, s84
	s_addc_u32 s85, s100, s85
	global_load_b32 v4, v3, s[84:85]
	s_waitcnt vmcnt(0)
	v_add_nc_u32_e32 v4, -1, v4
	s_delay_alu instid0(VALU_DEP_1)
	v_cmp_ne_u32_e32 vcc_lo, s66, v4
	s_cbranch_vccnz .LBB4_27
; %bb.23:                               ;   in Loop: Header=BB4_22 Depth=2
	s_lshl_b64 s[84:85], s[82:83], 3
	s_delay_alu instid0(SALU_CYCLE_1)
	s_add_u32 s84, s104, s84
	s_addc_u32 s85, vcc_hi, s85
	s_and_b32 vcc_lo, exec_lo, s67
	global_load_b64 v[18:19], v3, s[84:85]
	s_cbranch_vccz .LBB4_28
; %bb.24:                               ;   in Loop: Header=BB4_22 Depth=2
	s_and_saveexec_b32 s7, s2
	s_cbranch_execz .LBB4_26
; %bb.25:                               ;   in Loop: Header=BB4_22 Depth=2
	v_mov_b32_e32 v4, v53
	global_store_b64 v3, v[3:4], s[22:23]
.LBB4_26:                               ;   in Loop: Header=BB4_22 Depth=2
	s_or_b32 exec_lo, exec_lo, s7
	s_waitcnt vmcnt(0)
	s_waitcnt_vscnt null, 0x0
	s_barrier
	s_branch .LBB4_251
.LBB4_27:                               ;   in Loop: Header=BB4_22 Depth=2
	v_dual_mov_b32 v19, v2 :: v_dual_mov_b32 v18, v1
	s_mov_b32 s7, s82
                                        ; implicit-def: $sgpr20
                                        ; implicit-def: $sgpr69
	s_cbranch_execz .LBB4_22
	s_branch .LBB4_10
.LBB4_28:                               ;   in Loop: Header=BB4_22 Depth=2
	s_cbranch_execz .LBB4_251
; %bb.29:                               ;   in Loop: Header=BB4_22 Depth=2
	s_cmp_lg_u32 s20, 0
	s_cselect_b32 s83, -1, 0
	s_cmp_eq_u32 s20, 0
	s_cbranch_scc1 .LBB4_31
; %bb.30:                               ;   in Loop: Header=BB4_22 Depth=2
	s_waitcnt vmcnt(0)
	v_mul_f64 v[4:5], v[18:19], s[16:17]
	v_add_f64 v[6:7], v[18:19], -v[1:2]
	s_delay_alu instid0(VALU_DEP_2) | instskip(SKIP_1) | instid1(VALU_DEP_2)
	v_mul_f64 v[34:35], 0x40240000, |v[4:5]|
	v_fma_f64 v[4:5], 0x40240000, |v[4:5]|, v[1:2]
	v_cmp_lt_f64_e32 vcc_lo, v[6:7], v[34:35]
	s_delay_alu instid0(VALU_DEP_2)
	v_dual_cndmask_b32 v19, v19, v5 :: v_dual_cndmask_b32 v18, v18, v4
.LBB4_31:                               ;   in Loop: Header=BB4_22 Depth=2
	s_add_i32 s7, s82, s71
	s_delay_alu instid0(SALU_CYCLE_1) | instskip(SKIP_1) | instid1(VALU_DEP_1)
	v_lshl_or_b32 v4, s7, 8, v0
	s_mov_b32 s7, exec_lo
	v_add_nc_u32_e32 v5, 1, v4
	s_delay_alu instid0(VALU_DEP_1) | instskip(NEXT) | instid1(VALU_DEP_1)
	v_mul_hi_i32 v6, 0x40000001, v5
	v_lshrrev_b32_e32 v7, 31, v6
	v_ashrrev_i32_e32 v6, 29, v6
	s_delay_alu instid0(VALU_DEP_1) | instskip(NEXT) | instid1(VALU_DEP_1)
	v_add_nc_u32_e32 v6, v6, v7
	v_mul_lo_u32 v6, 0x7fffffff, v6
	s_delay_alu instid0(VALU_DEP_1) | instskip(NEXT) | instid1(VALU_DEP_1)
	v_sub_nc_u32_e32 v5, v5, v6
	v_max_i32_e32 v6, 1, v5
	s_delay_alu instid0(VALU_DEP_1)
	v_mov_b32_e32 v7, v6
	v_cmpx_ne_u32_e32 0x7ffffffe, v4
; %bb.32:                               ;   in Loop: Header=BB4_22 Depth=2
	v_sub_nc_u32_e32 v4, 0x7ffffffe, v4
	s_delay_alu instid0(VALU_DEP_1) | instskip(NEXT) | instid1(VALU_DEP_1)
	v_mul_hi_i32 v5, 0x4000007d, v4
	v_lshrrev_b32_e32 v7, 31, v5
	v_ashrrev_i32_e32 v5, 29, v5
	s_delay_alu instid0(VALU_DEP_1) | instskip(NEXT) | instid1(VALU_DEP_1)
	v_add_nc_u32_e32 v5, v5, v7
	v_mul_lo_u32 v5, 0x7fffff07, v5
	s_delay_alu instid0(VALU_DEP_1) | instskip(NEXT) | instid1(VALU_DEP_1)
	v_sub_nc_u32_e32 v4, v4, v5
	v_max_i32_e32 v7, 1, v4
; %bb.33:                               ;   in Loop: Header=BB4_22 Depth=2
	s_or_b32 exec_lo, exec_lo, s7
	s_and_saveexec_b32 s8, s5
	s_cbranch_execz .LBB4_36
; %bb.34:                               ;   in Loop: Header=BB4_22 Depth=2
	v_dual_mov_b32 v4, v10 :: v_dual_mov_b32 v5, v11
	v_mov_b32_e32 v34, v0
	s_mov_b32 s21, 0
.LBB4_35:                               ;   Parent Loop BB4_12 Depth=1
                                        ;     Parent Loop BB4_22 Depth=2
                                        ; =>    This Inner Loop Header: Depth=3
	v_mul_hi_i32 v35, 0x5e4789c9, v6
	v_mul_hi_i32 v36, 0x4f7a09cd, v7
	s_delay_alu instid0(VALU_DEP_3) | instskip(NEXT) | instid1(VALU_DEP_3)
	v_add_nc_u32_e32 v34, 0x100, v34
	v_lshrrev_b32_e32 v37, 31, v35
	v_ashrrev_i32_e32 v35, 14, v35
	s_delay_alu instid0(VALU_DEP_4) | instskip(SKIP_1) | instid1(VALU_DEP_3)
	v_lshrrev_b32_e32 v38, 31, v36
	v_ashrrev_i32_e32 v36, 14, v36
	v_add_nc_u32_e32 v35, v35, v37
	s_delay_alu instid0(VALU_DEP_2) | instskip(NEXT) | instid1(VALU_DEP_2)
	v_add_nc_u32_e32 v36, v36, v38
	v_mul_i32_i24_e32 v37, 0xadc8, v35
	s_delay_alu instid0(VALU_DEP_2) | instskip(NEXT) | instid1(VALU_DEP_2)
	v_mul_i32_i24_e32 v38, 0xce26, v36
	v_sub_nc_u32_e32 v6, v6, v37
	s_delay_alu instid0(VALU_DEP_2) | instskip(NEXT) | instid1(VALU_DEP_2)
	v_sub_nc_u32_e32 v7, v7, v38
	v_mul_lo_u32 v6, 0xbc8f, v6
	s_delay_alu instid0(VALU_DEP_2) | instskip(NEXT) | instid1(VALU_DEP_2)
	v_mul_lo_u32 v7, 0x9ef4, v7
	v_mad_i32_i24 v6, 0xfffff2b9, v35, v6
	s_delay_alu instid0(VALU_DEP_2) | instskip(NEXT) | instid1(VALU_DEP_2)
	v_mad_i32_i24 v7, 0xfffff131, v36, v7
	v_ashrrev_i32_e32 v35, 31, v6
	s_delay_alu instid0(VALU_DEP_2) | instskip(NEXT) | instid1(VALU_DEP_2)
	v_ashrrev_i32_e32 v36, 31, v7
	v_and_b32_e32 v35, 0x7fffffff, v35
	s_delay_alu instid0(VALU_DEP_2) | instskip(NEXT) | instid1(VALU_DEP_2)
	v_and_b32_e32 v36, 0x7fffff07, v36
	v_add_nc_u32_e32 v6, v35, v6
	s_delay_alu instid0(VALU_DEP_2) | instskip(NEXT) | instid1(VALU_DEP_1)
	v_add_nc_u32_e32 v7, v36, v7
	v_sub_nc_u32_e32 v35, v6, v7
	s_delay_alu instid0(VALU_DEP_1) | instskip(NEXT) | instid1(VALU_DEP_1)
	v_ashrrev_i32_e32 v36, 31, v35
	v_and_b32_e32 v36, 0x7fffffff, v36
	s_delay_alu instid0(VALU_DEP_1) | instskip(NEXT) | instid1(VALU_DEP_1)
	v_add_nc_u32_e32 v35, v36, v35
	v_cvt_f64_i32_e32 v[35:36], v35
	s_delay_alu instid0(VALU_DEP_1) | instskip(NEXT) | instid1(VALU_DEP_1)
	v_div_scale_f64 v[37:38], null, s[64:65], s[64:65], v[35:36]
	v_rcp_f64_e32 v[39:40], v[37:38]
	s_waitcnt_depctr 0xfff
	v_fma_f64 v[41:42], -v[37:38], v[39:40], 1.0
	s_delay_alu instid0(VALU_DEP_1) | instskip(NEXT) | instid1(VALU_DEP_1)
	v_fma_f64 v[39:40], v[39:40], v[41:42], v[39:40]
	v_fma_f64 v[41:42], -v[37:38], v[39:40], 1.0
	s_delay_alu instid0(VALU_DEP_1) | instskip(SKIP_1) | instid1(VALU_DEP_1)
	v_fma_f64 v[39:40], v[39:40], v[41:42], v[39:40]
	v_div_scale_f64 v[41:42], vcc_lo, v[35:36], s[64:65], v[35:36]
	v_mul_f64 v[43:44], v[41:42], v[39:40]
	s_delay_alu instid0(VALU_DEP_1) | instskip(NEXT) | instid1(VALU_DEP_1)
	v_fma_f64 v[37:38], -v[37:38], v[43:44], v[41:42]
	v_div_fmas_f64 v[37:38], v[37:38], v[39:40], v[43:44]
	v_cmp_lt_i32_e32 vcc_lo, s72, v34
	s_or_b32 s21, vcc_lo, s21
	s_delay_alu instid0(VALU_DEP_2) | instskip(SKIP_2) | instid1(VALU_DEP_1)
	v_div_fixup_f64 v[35:36], v[37:38], s[64:65], v[35:36]
	global_store_b64 v[4:5], v[35:36], off
	v_add_co_u32 v4, s7, 0x800, v4
	v_add_co_ci_u32_e64 v5, s7, 0, v5, s7
	s_and_not1_b32 exec_lo, exec_lo, s21
	s_cbranch_execnz .LBB4_35
.LBB4_36:                               ;   in Loop: Header=BB4_22 Depth=2
	s_or_b32 exec_lo, exec_lo, s8
	s_and_saveexec_b32 s21, s6
	s_cbranch_execz .LBB4_39
; %bb.37:                               ;   in Loop: Header=BB4_22 Depth=2
	v_dual_mov_b32 v38, v0 :: v_dual_mov_b32 v35, v17
	v_dual_mov_b32 v34, v16 :: v_dual_mov_b32 v37, v13
	;; [unrolled: 1-line block ×4, first 2 shown]
	v_mov_b32_e32 v36, v12
	s_mov_b32 s84, 0
	s_set_inst_prefetch_distance 0x1
	.p2align	6
.LBB4_38:                               ;   Parent Loop BB4_12 Depth=1
                                        ;     Parent Loop BB4_22 Depth=2
                                        ; =>    This Inner Loop Header: Depth=3
	global_load_b64 v[41:42], v[6:7], off
	v_add_nc_u32_e32 v39, s62, v38
	v_add_nc_u32_e32 v38, 0x100, v38
	s_delay_alu instid0(VALU_DEP_2) | instskip(NEXT) | instid1(VALU_DEP_1)
	v_ashrrev_i32_e32 v40, 31, v39
	v_lshlrev_b64 v[39:40], 3, v[39:40]
	s_delay_alu instid0(VALU_DEP_1) | instskip(NEXT) | instid1(VALU_DEP_2)
	v_add_co_u32 v39, vcc_lo, s22, v39
	v_add_co_ci_u32_e32 v40, vcc_lo, s23, v40, vcc_lo
	v_add_co_u32 v6, vcc_lo, 0x800, v6
	v_add_co_ci_u32_e32 v7, vcc_lo, 0, v7, vcc_lo
	v_cmp_le_i32_e32 vcc_lo, s72, v38
	s_or_b32 s84, vcc_lo, s84
	s_waitcnt vmcnt(0)
	global_store_b64 v[36:37], v[41:42], off
	global_load_b64 v[41:42], v[4:5], off
	v_add_co_u32 v36, s7, 0x800, v36
	v_add_co_u32 v4, s8, 0x800, v4
	v_add_co_ci_u32_e64 v37, s7, 0, v37, s7
	v_add_co_ci_u32_e64 v5, s7, 0, v5, s8
	s_waitcnt vmcnt(0)
	global_store_b64 v[39:40], v[41:42], off
	global_store_b64 v[34:35], v[41:42], off
	v_add_co_u32 v34, s7, 0x800, v34
	s_delay_alu instid0(VALU_DEP_1)
	v_add_co_ci_u32_e64 v35, s7, 0, v35, s7
	s_and_not1_b32 exec_lo, exec_lo, s84
	s_cbranch_execnz .LBB4_38
.LBB4_39:                               ;   in Loop: Header=BB4_22 Depth=2
	s_set_inst_prefetch_distance 0x2
	s_or_b32 exec_lo, exec_lo, s21
	s_and_saveexec_b32 s7, s2
	s_cbranch_execz .LBB4_41
; %bb.40:                               ;   in Loop: Header=BB4_22 Depth=2
	global_load_b64 v[4:5], v3, s[74:75]
	s_waitcnt vmcnt(0)
	global_store_b64 v3, v[4:5], s[76:77]
.LBB4_41:                               ;   in Loop: Header=BB4_22 Depth=2
	s_or_b32 exec_lo, exec_lo, s7
	s_waitcnt vmcnt(0)
	s_waitcnt_vscnt null, 0x0
	s_barrier
	buffer_gl0_inv
	s_and_saveexec_b32 s7, s2
	s_cbranch_execz .LBB4_68
; %bb.42:                               ;   in Loop: Header=BB4_22 Depth=2
	global_load_b64 v[4:5], v3, s[26:27]
	s_mov_b32 s8, 1
	s_mov_b64 s[84:85], s[54:55]
	s_mov_b64 s[86:87], s[52:53]
	;; [unrolled: 1-line block ×5, first 2 shown]
	global_store_b32 v3, v3, s[78:79]
	s_waitcnt vmcnt(0)
	v_add_f64 v[4:5], v[4:5], -v[18:19]
	global_store_b64 v3, v[4:5], s[26:27]
	global_load_b64 v[6:7], v3, s[40:41] offset:8
	s_waitcnt vmcnt(0)
	v_add_f64 v[5:6], |v[4:5]|, |v[6:7]|
	s_branch .LBB4_44
.LBB4_43:                               ;   in Loop: Header=BB4_44 Depth=3
	s_add_u32 s92, s92, 8
	s_addc_u32 s93, s93, 0
	s_add_u32 s90, s90, 8
	s_addc_u32 s91, s91, 0
	;; [unrolled: 2-line block ×4, first 2 shown]
	s_add_i32 s8, s8, 1
	s_add_u32 s84, s84, 8
	s_addc_u32 s85, s85, 0
	s_cmp_eq_u32 s29, s8
	s_cbranch_scc1 .LBB4_65
.LBB4_44:                               ;   Parent Loop BB4_12 Depth=1
                                        ;     Parent Loop BB4_22 Depth=2
                                        ; =>    This Inner Loop Header: Depth=3
	s_add_i32 s98, s8, -1
	s_add_u32 s96, s12, s84
	s_addc_u32 s97, s13, s85
	s_add_u32 s94, s12, s86
	global_load_b64 v[34:35], v3, s[96:97]
	s_addc_u32 s95, s13, s87
	s_cmp_lt_i32 s98, s73
	s_cselect_b32 s21, -1, 0
	s_cmp_ge_i32 s98, s73
	s_waitcnt vmcnt(0)
	v_add_f64 v[38:39], v[34:35], -v[18:19]
	global_store_b64 v3, v[38:39], s[96:97]
	global_load_b64 v[40:41], v3, s[94:95]
	s_waitcnt vmcnt(0)
	v_add_f64 v[34:35], |v[38:39]|, |v[40:41]|
	s_cbranch_scc1 .LBB4_46
; %bb.45:                               ;   in Loop: Header=BB4_44 Depth=3
	s_add_u32 s98, s12, s92
	s_addc_u32 s99, s13, s93
	global_load_b64 v[36:37], v3, s[98:99] offset:16
	s_waitcnt vmcnt(0)
	v_add_f64 v[34:35], v[34:35], |v[36:37]|
.LBB4_46:                               ;   in Loop: Header=BB4_44 Depth=3
	global_load_b64 v[44:45], v3, s[96:97] offset:-8
	v_mov_b32_e32 v36, 0
	v_mov_b32_e32 v37, 0
	s_waitcnt vmcnt(0)
	v_cmp_eq_f64_e32 vcc_lo, 0, v[44:45]
	s_cbranch_vccnz .LBB4_48
; %bb.47:                               ;   in Loop: Header=BB4_44 Depth=3
	v_dual_mov_b32 v36, v44 :: v_dual_and_b32 v37, 0x7fffffff, v45
	s_delay_alu instid0(VALU_DEP_1) | instskip(SKIP_1) | instid1(VALU_DEP_2)
	v_div_scale_f64 v[42:43], null, v[5:6], v[5:6], v[36:37]
	v_div_scale_f64 v[36:37], vcc_lo, v[36:37], v[5:6], v[36:37]
	v_rcp_f64_e32 v[46:47], v[42:43]
	s_waitcnt_depctr 0xfff
	v_fma_f64 v[56:57], -v[42:43], v[46:47], 1.0
	s_delay_alu instid0(VALU_DEP_1) | instskip(NEXT) | instid1(VALU_DEP_1)
	v_fma_f64 v[46:47], v[46:47], v[56:57], v[46:47]
	v_fma_f64 v[56:57], -v[42:43], v[46:47], 1.0
	s_delay_alu instid0(VALU_DEP_1) | instskip(NEXT) | instid1(VALU_DEP_1)
	v_fma_f64 v[46:47], v[46:47], v[56:57], v[46:47]
	v_mul_f64 v[56:57], v[36:37], v[46:47]
	s_delay_alu instid0(VALU_DEP_1) | instskip(NEXT) | instid1(VALU_DEP_1)
	v_fma_f64 v[36:37], -v[42:43], v[56:57], v[36:37]
	v_div_fmas_f64 v[36:37], v[36:37], v[46:47], v[56:57]
	s_delay_alu instid0(VALU_DEP_1)
	v_div_fixup_f64 v[36:37], v[36:37], v[5:6], |v[44:45]|
.LBB4_48:                               ;   in Loop: Header=BB4_44 Depth=3
	v_cmp_neq_f64_e32 vcc_lo, 0, v[40:41]
	s_cbranch_vccz .LBB4_53
; %bb.49:                               ;   in Loop: Header=BB4_44 Depth=3
	v_dual_mov_b32 v42, v40 :: v_dual_and_b32 v43, 0x7fffffff, v41
	s_delay_alu instid0(VALU_DEP_1) | instskip(SKIP_1) | instid1(VALU_DEP_2)
	v_div_scale_f64 v[46:47], null, v[34:35], v[34:35], v[42:43]
	v_div_scale_f64 v[42:43], vcc_lo, v[42:43], v[34:35], v[42:43]
	v_rcp_f64_e32 v[56:57], v[46:47]
	s_waitcnt_depctr 0xfff
	v_fma_f64 v[58:59], -v[46:47], v[56:57], 1.0
	s_delay_alu instid0(VALU_DEP_1) | instskip(NEXT) | instid1(VALU_DEP_1)
	v_fma_f64 v[56:57], v[56:57], v[58:59], v[56:57]
	v_fma_f64 v[58:59], -v[46:47], v[56:57], 1.0
	s_delay_alu instid0(VALU_DEP_1) | instskip(NEXT) | instid1(VALU_DEP_1)
	v_fma_f64 v[56:57], v[56:57], v[58:59], v[56:57]
	v_mul_f64 v[58:59], v[42:43], v[56:57]
	s_delay_alu instid0(VALU_DEP_1) | instskip(NEXT) | instid1(VALU_DEP_1)
	v_fma_f64 v[42:43], -v[46:47], v[58:59], v[42:43]
	v_div_fmas_f64 v[42:43], v[42:43], v[56:57], v[58:59]
	s_delay_alu instid0(VALU_DEP_1) | instskip(NEXT) | instid1(VALU_DEP_1)
	v_div_fixup_f64 v[42:43], v[42:43], v[34:35], |v[40:41]|
	v_cmp_nle_f64_e32 vcc_lo, v[42:43], v[36:37]
	s_cbranch_vccnz .LBB4_54
; %bb.50:                               ;   in Loop: Header=BB4_44 Depth=3
	v_div_scale_f64 v[46:47], null, v[44:45], v[44:45], v[40:41]
	s_add_u32 s98, s12, s92
	s_addc_u32 s99, s13, s93
	s_delay_alu instid0(VALU_DEP_1) | instskip(SKIP_2) | instid1(VALU_DEP_1)
	v_rcp_f64_e32 v[56:57], v[46:47]
	s_waitcnt_depctr 0xfff
	v_fma_f64 v[58:59], -v[46:47], v[56:57], 1.0
	v_fma_f64 v[56:57], v[56:57], v[58:59], v[56:57]
	s_delay_alu instid0(VALU_DEP_1) | instskip(NEXT) | instid1(VALU_DEP_1)
	v_fma_f64 v[58:59], -v[46:47], v[56:57], 1.0
	v_fma_f64 v[56:57], v[56:57], v[58:59], v[56:57]
	v_div_scale_f64 v[58:59], vcc_lo, v[40:41], v[44:45], v[40:41]
	s_delay_alu instid0(VALU_DEP_1) | instskip(NEXT) | instid1(VALU_DEP_1)
	v_mul_f64 v[60:61], v[58:59], v[56:57]
	v_fma_f64 v[46:47], -v[46:47], v[60:61], v[58:59]
	s_delay_alu instid0(VALU_DEP_1) | instskip(SKIP_1) | instid1(VALU_DEP_1)
	v_div_fmas_f64 v[46:47], v[46:47], v[56:57], v[60:61]
	s_and_not1_b32 vcc_lo, exec_lo, s21
	v_div_fixup_f64 v[46:47], v[46:47], v[44:45], v[40:41]
	global_store_b64 v3, v[46:47], s[94:95]
	s_clause 0x1
	global_load_b64 v[56:57], v3, s[96:97]
	global_load_b64 v[58:59], v3, s[98:99] offset:8
	s_waitcnt vmcnt(0)
	v_fma_f64 v[46:47], -v[46:47], v[58:59], v[56:57]
	s_clause 0x1
	global_store_b32 v3, v3, s[88:89]
	global_store_b64 v3, v[46:47], s[96:97]
	s_cbranch_vccnz .LBB4_52
; %bb.51:                               ;   in Loop: Header=BB4_44 Depth=3
	v_mov_b32_e32 v4, v3
	s_add_u32 s98, s12, s90
	s_addc_u32 s99, s13, s91
	global_store_b64 v3, v[3:4], s[98:99]
.LBB4_52:                               ;   in Loop: Header=BB4_44 Depth=3
	v_dual_mov_b32 v47, v35 :: v_dual_mov_b32 v46, v34
	s_cbranch_execz .LBB4_55
	s_branch .LBB4_58
.LBB4_53:                               ;   in Loop: Header=BB4_44 Depth=3
                                        ; implicit-def: $vgpr42_vgpr43
                                        ; implicit-def: $vgpr5_vgpr6
	s_branch .LBB4_59
.LBB4_54:                               ;   in Loop: Header=BB4_44 Depth=3
	v_dual_mov_b32 v47, v35 :: v_dual_mov_b32 v46, v34
.LBB4_55:                               ;   in Loop: Header=BB4_44 Depth=3
	v_div_scale_f64 v[46:47], null, v[40:41], v[40:41], v[44:45]
	s_add_u32 s98, s12, s92
	s_addc_u32 s99, s13, s93
	global_store_b64 v3, v[40:41], s[96:97] offset:-8
	v_rcp_f64_e32 v[56:57], v[46:47]
	s_waitcnt_depctr 0xfff
	v_fma_f64 v[58:59], -v[46:47], v[56:57], 1.0
	s_delay_alu instid0(VALU_DEP_1) | instskip(NEXT) | instid1(VALU_DEP_1)
	v_fma_f64 v[56:57], v[56:57], v[58:59], v[56:57]
	v_fma_f64 v[58:59], -v[46:47], v[56:57], 1.0
	s_delay_alu instid0(VALU_DEP_1) | instskip(SKIP_1) | instid1(VALU_DEP_1)
	v_fma_f64 v[56:57], v[56:57], v[58:59], v[56:57]
	v_div_scale_f64 v[58:59], vcc_lo, v[44:45], v[40:41], v[44:45]
	v_mul_f64 v[60:61], v[58:59], v[56:57]
	s_delay_alu instid0(VALU_DEP_1) | instskip(NEXT) | instid1(VALU_DEP_1)
	v_fma_f64 v[46:47], -v[46:47], v[60:61], v[58:59]
	v_div_fmas_f64 v[46:47], v[46:47], v[56:57], v[60:61]
	s_and_not1_b32 vcc_lo, exec_lo, s21
	s_delay_alu instid0(VALU_DEP_1)
	v_div_fixup_f64 v[40:41], v[46:47], v[40:41], v[44:45]
	global_load_b64 v[44:45], v3, s[98:99] offset:8
	s_waitcnt vmcnt(0)
	v_fma_f64 v[44:45], -v[38:39], v[40:41], v[44:45]
	s_clause 0x1
	global_store_b32 v3, v52, s[88:89]
	global_store_b64 v3, v[44:45], s[96:97]
	s_cbranch_vccnz .LBB4_57
; %bb.56:                               ;   in Loop: Header=BB4_44 Depth=3
	global_load_b64 v[44:45], v3, s[98:99] offset:16
	s_add_u32 s96, s12, s90
	s_addc_u32 s97, s13, s91
	s_waitcnt vmcnt(0)
	v_mul_f64 v[46:47], v[44:45], -v[40:41]
	s_clause 0x1
	global_store_b64 v3, v[44:45], s[96:97]
	global_store_b64 v3, v[46:47], s[98:99] offset:16
.LBB4_57:                               ;   in Loop: Header=BB4_44 Depth=3
	v_dual_mov_b32 v47, v6 :: v_dual_mov_b32 v46, v5
	s_clause 0x1
	global_store_b64 v3, v[38:39], s[98:99] offset:8
	global_store_b64 v3, v[40:41], s[94:95]
.LBB4_58:                               ;   in Loop: Header=BB4_44 Depth=3
	s_delay_alu instid0(VALU_DEP_1)
	v_dual_mov_b32 v5, v46 :: v_dual_mov_b32 v6, v47
	s_cbranch_execnz .LBB4_62
.LBB4_59:                               ;   in Loop: Header=BB4_44 Depth=3
	s_and_not1_b32 vcc_lo, exec_lo, s21
	global_store_b32 v3, v3, s[88:89]
	s_cbranch_vccnz .LBB4_61
; %bb.60:                               ;   in Loop: Header=BB4_44 Depth=3
	v_mov_b32_e32 v4, v3
	s_add_u32 s94, s12, s90
	s_addc_u32 s95, s13, s91
	global_store_b64 v3, v[3:4], s[94:95]
.LBB4_61:                               ;   in Loop: Header=BB4_44 Depth=3
	v_dual_mov_b32 v42, 0 :: v_dual_mov_b32 v5, v34
	v_dual_mov_b32 v43, 0 :: v_dual_mov_b32 v6, v35
.LBB4_62:                               ;   in Loop: Header=BB4_44 Depth=3
	s_delay_alu instid0(VALU_DEP_1) | instskip(SKIP_1) | instid1(VALU_DEP_1)
	v_max_f64 v[34:35], v[42:43], v[42:43]
	v_max_f64 v[36:37], v[36:37], v[36:37]
	;; [unrolled: 1-line block ×3, first 2 shown]
	s_delay_alu instid0(VALU_DEP_1)
	v_cmp_nle_f64_e32 vcc_lo, v[34:35], v[8:9]
	s_cbranch_vccnz .LBB4_43
; %bb.63:                               ;   in Loop: Header=BB4_44 Depth=3
	global_load_b32 v4, v3, s[78:79]
	s_waitcnt vmcnt(0)
	v_cmp_ne_u32_e32 vcc_lo, 0, v4
	s_cbranch_vccnz .LBB4_43
; %bb.64:                               ;   in Loop: Header=BB4_44 Depth=3
	v_mov_b32_e32 v4, s8
	global_store_b32 v3, v4, s[78:79]
	s_branch .LBB4_43
.LBB4_65:                               ;   in Loop: Header=BB4_22 Depth=2
	global_load_b64 v[34:35], v3, s[80:81]
	v_mul_f64 v[4:5], v[8:9], v[5:6]
	s_waitcnt vmcnt(0)
	s_delay_alu instid0(VALU_DEP_1) | instskip(NEXT) | instid1(VALU_DEP_1)
	v_cmp_le_f64_e64 s8, |v[34:35]|, v[4:5]
	s_and_b32 vcc_lo, exec_lo, s8
	s_cbranch_vccz .LBB4_68
; %bb.66:                               ;   in Loop: Header=BB4_22 Depth=2
	global_load_b32 v4, v3, s[78:79]
	s_waitcnt vmcnt(0)
	v_cmp_ne_u32_e32 vcc_lo, 0, v4
	s_cbranch_vccnz .LBB4_68
; %bb.67:                               ;   in Loop: Header=BB4_22 Depth=2
	global_store_b32 v3, v55, s[78:79]
.LBB4_68:                               ;   in Loop: Header=BB4_22 Depth=2
	s_or_b32 exec_lo, exec_lo, s7
	v_add_f64 v[1:2], v[18:19], -v[1:2]
	s_mov_b32 s95, 0
	s_mov_b32 s96, 0
	s_delay_alu instid0(VALU_DEP_1)
	v_cmp_gt_f64_e64 s94, |v[1:2]|, v[24:25]
.LBB4_69:                               ;   Parent Loop BB4_12 Depth=1
                                        ;     Parent Loop BB4_22 Depth=2
                                        ; =>    This Loop Header: Depth=3
                                        ;         Child Loop BB4_71 Depth 4
                                        ;         Child Loop BB4_110 Depth 4
	;; [unrolled: 1-line block ×5, first 2 shown]
                                        ;           Child Loop BB4_130 Depth 5
                                        ;         Child Loop BB4_143 Depth 4
                                        ;           Child Loop BB4_144 Depth 5
                                        ;           Child Loop BB4_146 Depth 5
                                        ;         Child Loop BB4_151 Depth 4
	v_mov_b32_e32 v1, 0
	v_mov_b32_e32 v2, 0
	v_bfrev_b32_e32 v6, -2
	s_and_saveexec_b32 s8, s5
	s_cbranch_execz .LBB4_73
; %bb.70:                               ;   in Loop: Header=BB4_69 Depth=3
	v_dual_mov_b32 v1, 0 :: v_dual_mov_b32 v4, v10
	v_bfrev_b32_e32 v6, -2
	v_dual_mov_b32 v2, 0 :: v_dual_mov_b32 v5, v11
	v_mov_b32_e32 v7, v0
	s_mov_b32 s21, 0
	.p2align	6
.LBB4_71:                               ;   Parent Loop BB4_12 Depth=1
                                        ;     Parent Loop BB4_22 Depth=2
                                        ;       Parent Loop BB4_69 Depth=3
                                        ; =>      This Inner Loop Header: Depth=4
	global_load_b64 v[34:35], v[4:5], off
	v_cmp_eq_u32_e32 vcc_lo, 0x7fffffff, v6
	v_add_co_u32 v4, s7, 0x800, v4
	s_delay_alu instid0(VALU_DEP_1) | instskip(SKIP_3) | instid1(VALU_DEP_2)
	v_add_co_ci_u32_e64 v5, s7, 0, v5, s7
	s_waitcnt vmcnt(0)
	v_cmp_lt_f64_e64 s84, v[1:2], |v[34:35]|
	v_and_b32_e32 v35, 0x7fffffff, v35
	s_or_b32 vcc_lo, s84, vcc_lo
	v_dual_cndmask_b32 v1, v1, v34 :: v_dual_add_nc_u32 v36, 1, v7
	v_add_nc_u32_e32 v7, 0x100, v7
	s_delay_alu instid0(VALU_DEP_3) | instskip(NEXT) | instid1(VALU_DEP_3)
	v_cndmask_b32_e32 v2, v2, v35, vcc_lo
	v_cndmask_b32_e32 v6, v6, v36, vcc_lo
	s_delay_alu instid0(VALU_DEP_3) | instskip(NEXT) | instid1(VALU_DEP_1)
	v_cmp_lt_i32_e64 s7, s72, v7
	s_or_b32 s21, s7, s21
	s_delay_alu instid0(SALU_CYCLE_1)
	s_and_not1_b32 exec_lo, exec_lo, s21
	s_cbranch_execnz .LBB4_71
; %bb.72:                               ;   in Loop: Header=BB4_69 Depth=3
	s_or_b32 exec_lo, exec_lo, s21
.LBB4_73:                               ;   in Loop: Header=BB4_69 Depth=3
	s_delay_alu instid0(SALU_CYCLE_1)
	s_or_b32 exec_lo, exec_lo, s8
	ds_store_b64 v50, v[1:2]
	ds_store_b32 v51, v6 offset:4096
	s_waitcnt lgkmcnt(0)
	s_waitcnt_vscnt null, 0x0
	s_barrier
	buffer_gl0_inv
	s_and_saveexec_b32 s8, s0
	s_cbranch_execz .LBB4_79
; %bb.74:                               ;   in Loop: Header=BB4_69 Depth=3
	v_add_nc_u32_e32 v4, v51, v48
	s_mov_b32 s84, exec_lo
	ds_load_b32 v7, v49 offset:512
	ds_load_b64 v[4:5], v4 offset:1024
	s_waitcnt lgkmcnt(0)
	v_cmp_lt_f64_e64 s21, v[1:2], v[4:5]
	v_cmpx_nlt_f64_e32 v[1:2], v[4:5]
; %bb.75:                               ;   in Loop: Header=BB4_69 Depth=3
	v_cmp_eq_f64_e32 vcc_lo, v[1:2], v[4:5]
	v_cmp_gt_i32_e64 s7, v6, v7
	s_delay_alu instid0(VALU_DEP_4) | instskip(NEXT) | instid1(VALU_DEP_1)
	s_and_not1_b32 s21, s21, exec_lo
	s_and_b32 s7, vcc_lo, s7
	s_delay_alu instid0(SALU_CYCLE_1) | instskip(NEXT) | instid1(SALU_CYCLE_1)
	s_and_b32 s7, s7, exec_lo
	s_or_b32 s21, s21, s7
; %bb.76:                               ;   in Loop: Header=BB4_69 Depth=3
	s_or_b32 exec_lo, exec_lo, s84
	s_and_saveexec_b32 s7, s21
	s_cbranch_execz .LBB4_78
; %bb.77:                               ;   in Loop: Header=BB4_69 Depth=3
	v_dual_mov_b32 v6, v7 :: v_dual_mov_b32 v1, v4
	v_mov_b32_e32 v2, v5
	ds_store_b64 v50, v[4:5]
	ds_store_b32 v51, v7 offset:4096
.LBB4_78:                               ;   in Loop: Header=BB4_69 Depth=3
	s_or_b32 exec_lo, exec_lo, s7
.LBB4_79:                               ;   in Loop: Header=BB4_69 Depth=3
	s_delay_alu instid0(SALU_CYCLE_1)
	s_or_b32 exec_lo, exec_lo, s8
	s_waitcnt lgkmcnt(0)
	s_barrier
	buffer_gl0_inv
	s_and_saveexec_b32 s8, s1
	s_cbranch_execz .LBB4_85
; %bb.80:                               ;   in Loop: Header=BB4_69 Depth=3
	v_add_nc_u32_e32 v4, v51, v48
	s_mov_b32 s84, exec_lo
	ds_load_b32 v7, v49 offset:256
	ds_load_b64 v[4:5], v4 offset:512
	s_waitcnt lgkmcnt(0)
	v_cmp_lt_f64_e64 s21, v[1:2], v[4:5]
	v_cmpx_nlt_f64_e32 v[1:2], v[4:5]
; %bb.81:                               ;   in Loop: Header=BB4_69 Depth=3
	v_cmp_eq_f64_e32 vcc_lo, v[1:2], v[4:5]
	v_cmp_gt_i32_e64 s7, v6, v7
	s_delay_alu instid0(VALU_DEP_4) | instskip(NEXT) | instid1(VALU_DEP_1)
	s_and_not1_b32 s21, s21, exec_lo
	s_and_b32 s7, vcc_lo, s7
	s_delay_alu instid0(SALU_CYCLE_1) | instskip(NEXT) | instid1(SALU_CYCLE_1)
	s_and_b32 s7, s7, exec_lo
	s_or_b32 s21, s21, s7
; %bb.82:                               ;   in Loop: Header=BB4_69 Depth=3
	s_or_b32 exec_lo, exec_lo, s84
	s_and_saveexec_b32 s7, s21
	s_cbranch_execz .LBB4_84
; %bb.83:                               ;   in Loop: Header=BB4_69 Depth=3
	v_dual_mov_b32 v6, v7 :: v_dual_mov_b32 v1, v4
	v_mov_b32_e32 v2, v5
	ds_store_b64 v50, v[4:5]
	ds_store_b32 v51, v7 offset:4096
.LBB4_84:                               ;   in Loop: Header=BB4_69 Depth=3
	s_or_b32 exec_lo, exec_lo, s7
.LBB4_85:                               ;   in Loop: Header=BB4_69 Depth=3
	s_delay_alu instid0(SALU_CYCLE_1)
	s_or_b32 exec_lo, exec_lo, s8
	s_waitcnt lgkmcnt(0)
	s_barrier
	buffer_gl0_inv
	s_and_saveexec_b32 s84, s3
	s_cbranch_execz .LBB4_108
; %bb.86:                               ;   in Loop: Header=BB4_69 Depth=3
	v_add_nc_u32_e32 v7, v51, v48
	s_mov_b32 s21, exec_lo
	ds_load_b32 v34, v49 offset:128
	ds_load_b64 v[4:5], v7 offset:256
	s_waitcnt lgkmcnt(0)
	v_cmp_lt_f64_e64 s8, v[1:2], v[4:5]
	v_cmpx_nlt_f64_e32 v[1:2], v[4:5]
; %bb.87:                               ;   in Loop: Header=BB4_69 Depth=3
	v_cmp_eq_f64_e32 vcc_lo, v[1:2], v[4:5]
	v_cmp_gt_i32_e64 s7, v6, v34
	s_delay_alu instid0(VALU_DEP_4) | instskip(NEXT) | instid1(VALU_DEP_1)
	s_and_not1_b32 s8, s8, exec_lo
	s_and_b32 s7, vcc_lo, s7
	s_delay_alu instid0(SALU_CYCLE_1) | instskip(NEXT) | instid1(SALU_CYCLE_1)
	s_and_b32 s7, s7, exec_lo
	s_or_b32 s8, s8, s7
; %bb.88:                               ;   in Loop: Header=BB4_69 Depth=3
	s_or_b32 exec_lo, exec_lo, s21
	s_and_saveexec_b32 s7, s8
	s_cbranch_execz .LBB4_90
; %bb.89:                               ;   in Loop: Header=BB4_69 Depth=3
	v_dual_mov_b32 v1, v4 :: v_dual_mov_b32 v2, v5
	v_mov_b32_e32 v6, v34
	ds_store_b64 v50, v[4:5]
	ds_store_b32 v51, v34 offset:4096
.LBB4_90:                               ;   in Loop: Header=BB4_69 Depth=3
	s_or_b32 exec_lo, exec_lo, s7
	ds_load_b64 v[4:5], v7 offset:128
	ds_load_b32 v34, v49 offset:64
	s_mov_b32 s21, exec_lo
	s_waitcnt lgkmcnt(1)
	v_cmp_lt_f64_e64 s8, v[1:2], v[4:5]
	v_cmpx_nlt_f64_e32 v[1:2], v[4:5]
	s_cbranch_execz .LBB4_92
; %bb.91:                               ;   in Loop: Header=BB4_69 Depth=3
	v_cmp_eq_f64_e32 vcc_lo, v[1:2], v[4:5]
	s_waitcnt lgkmcnt(0)
	v_cmp_gt_i32_e64 s7, v6, v34
	s_delay_alu instid0(VALU_DEP_4) | instskip(NEXT) | instid1(VALU_DEP_1)
	s_and_not1_b32 s8, s8, exec_lo
	s_and_b32 s7, vcc_lo, s7
	s_delay_alu instid0(SALU_CYCLE_1) | instskip(NEXT) | instid1(SALU_CYCLE_1)
	s_and_b32 s7, s7, exec_lo
	s_or_b32 s8, s8, s7
.LBB4_92:                               ;   in Loop: Header=BB4_69 Depth=3
	s_or_b32 exec_lo, exec_lo, s21
	s_delay_alu instid0(VALU_DEP_2)
	s_and_saveexec_b32 s7, s8
	s_cbranch_execz .LBB4_94
; %bb.93:                               ;   in Loop: Header=BB4_69 Depth=3
	v_dual_mov_b32 v1, v4 :: v_dual_mov_b32 v2, v5
	s_waitcnt lgkmcnt(0)
	v_mov_b32_e32 v6, v34
	ds_store_b64 v50, v[4:5]
	ds_store_b32 v51, v34 offset:4096
.LBB4_94:                               ;   in Loop: Header=BB4_69 Depth=3
	s_or_b32 exec_lo, exec_lo, s7
	ds_load_b64 v[4:5], v7 offset:64
	s_waitcnt lgkmcnt(1)
	ds_load_b32 v34, v49 offset:32
	s_mov_b32 s21, exec_lo
	s_waitcnt lgkmcnt(1)
	v_cmp_lt_f64_e64 s8, v[1:2], v[4:5]
	v_cmpx_nlt_f64_e32 v[1:2], v[4:5]
	s_cbranch_execz .LBB4_96
; %bb.95:                               ;   in Loop: Header=BB4_69 Depth=3
	v_cmp_eq_f64_e32 vcc_lo, v[1:2], v[4:5]
	s_waitcnt lgkmcnt(0)
	v_cmp_gt_i32_e64 s7, v6, v34
	s_delay_alu instid0(VALU_DEP_4) | instskip(NEXT) | instid1(VALU_DEP_1)
	s_and_not1_b32 s8, s8, exec_lo
	s_and_b32 s7, vcc_lo, s7
	s_delay_alu instid0(SALU_CYCLE_1) | instskip(NEXT) | instid1(SALU_CYCLE_1)
	s_and_b32 s7, s7, exec_lo
	s_or_b32 s8, s8, s7
.LBB4_96:                               ;   in Loop: Header=BB4_69 Depth=3
	s_or_b32 exec_lo, exec_lo, s21
	s_delay_alu instid0(VALU_DEP_2)
	s_and_saveexec_b32 s7, s8
	s_cbranch_execz .LBB4_98
; %bb.97:                               ;   in Loop: Header=BB4_69 Depth=3
	v_dual_mov_b32 v1, v4 :: v_dual_mov_b32 v2, v5
	s_waitcnt lgkmcnt(0)
	v_mov_b32_e32 v6, v34
	ds_store_b64 v50, v[4:5]
	ds_store_b32 v51, v34 offset:4096
.LBB4_98:                               ;   in Loop: Header=BB4_69 Depth=3
	s_or_b32 exec_lo, exec_lo, s7
	ds_load_b64 v[4:5], v7 offset:32
	s_waitcnt lgkmcnt(1)
	ds_load_b32 v34, v49 offset:16
	s_mov_b32 s21, exec_lo
	s_waitcnt lgkmcnt(1)
	v_cmp_lt_f64_e64 s8, v[1:2], v[4:5]
	v_cmpx_nlt_f64_e32 v[1:2], v[4:5]
	s_cbranch_execz .LBB4_100
; %bb.99:                               ;   in Loop: Header=BB4_69 Depth=3
	v_cmp_eq_f64_e32 vcc_lo, v[1:2], v[4:5]
	s_waitcnt lgkmcnt(0)
	v_cmp_gt_i32_e64 s7, v6, v34
	s_delay_alu instid0(VALU_DEP_4) | instskip(NEXT) | instid1(VALU_DEP_1)
	s_and_not1_b32 s8, s8, exec_lo
	s_and_b32 s7, vcc_lo, s7
	s_delay_alu instid0(SALU_CYCLE_1) | instskip(NEXT) | instid1(SALU_CYCLE_1)
	s_and_b32 s7, s7, exec_lo
	s_or_b32 s8, s8, s7
.LBB4_100:                              ;   in Loop: Header=BB4_69 Depth=3
	s_or_b32 exec_lo, exec_lo, s21
	s_delay_alu instid0(VALU_DEP_2)
	s_and_saveexec_b32 s7, s8
	s_cbranch_execz .LBB4_102
; %bb.101:                              ;   in Loop: Header=BB4_69 Depth=3
	v_dual_mov_b32 v1, v4 :: v_dual_mov_b32 v2, v5
	s_waitcnt lgkmcnt(0)
	v_mov_b32_e32 v6, v34
	ds_store_b64 v50, v[4:5]
	ds_store_b32 v51, v34 offset:4096
.LBB4_102:                              ;   in Loop: Header=BB4_69 Depth=3
	s_or_b32 exec_lo, exec_lo, s7
	ds_load_b64 v[4:5], v7 offset:16
	s_waitcnt lgkmcnt(1)
	ds_load_b32 v34, v49 offset:8
	s_mov_b32 s21, exec_lo
	s_waitcnt lgkmcnt(1)
	v_cmp_lt_f64_e64 s8, v[1:2], v[4:5]
	v_cmpx_nlt_f64_e32 v[1:2], v[4:5]
	s_cbranch_execz .LBB4_104
; %bb.103:                              ;   in Loop: Header=BB4_69 Depth=3
	v_cmp_eq_f64_e32 vcc_lo, v[1:2], v[4:5]
	s_waitcnt lgkmcnt(0)
	v_cmp_gt_i32_e64 s7, v6, v34
	s_delay_alu instid0(VALU_DEP_4) | instskip(NEXT) | instid1(VALU_DEP_1)
	s_and_not1_b32 s8, s8, exec_lo
	s_and_b32 s7, vcc_lo, s7
	s_delay_alu instid0(SALU_CYCLE_1) | instskip(NEXT) | instid1(SALU_CYCLE_1)
	s_and_b32 s7, s7, exec_lo
	s_or_b32 s8, s8, s7
.LBB4_104:                              ;   in Loop: Header=BB4_69 Depth=3
	s_or_b32 exec_lo, exec_lo, s21
	s_delay_alu instid0(VALU_DEP_2)
	s_and_saveexec_b32 s7, s8
	s_cbranch_execz .LBB4_106
; %bb.105:                              ;   in Loop: Header=BB4_69 Depth=3
	v_dual_mov_b32 v1, v4 :: v_dual_mov_b32 v2, v5
	s_waitcnt lgkmcnt(0)
	v_mov_b32_e32 v6, v34
	ds_store_b64 v50, v[4:5]
	ds_store_b32 v51, v34 offset:4096
.LBB4_106:                              ;   in Loop: Header=BB4_69 Depth=3
	s_or_b32 exec_lo, exec_lo, s7
	ds_load_b64 v[4:5], v7 offset:8
	s_waitcnt lgkmcnt(0)
	v_cmp_eq_f64_e32 vcc_lo, v[1:2], v[4:5]
	v_cmp_lt_f64_e64 s7, v[1:2], v[4:5]
	ds_load_b32 v1, v49 offset:4
	s_waitcnt lgkmcnt(0)
	v_cmp_gt_i32_e64 s8, v6, v1
	s_delay_alu instid0(VALU_DEP_1) | instskip(NEXT) | instid1(SALU_CYCLE_1)
	s_and_b32 s8, vcc_lo, s8
	s_or_b32 s7, s7, s8
	s_delay_alu instid0(SALU_CYCLE_1)
	s_and_b32 exec_lo, exec_lo, s7
	s_cbranch_execz .LBB4_108
; %bb.107:                              ;   in Loop: Header=BB4_69 Depth=3
	ds_store_b64 v50, v[4:5]
	ds_store_b32 v51, v1 offset:4096
.LBB4_108:                              ;   in Loop: Header=BB4_69 Depth=3
	s_or_b32 exec_lo, exec_lo, s84
	s_waitcnt lgkmcnt(0)
	s_barrier
	buffer_gl0_inv
	s_and_saveexec_b32 s8, s5
	s_cbranch_execz .LBB4_111
; %bb.109:                              ;   in Loop: Header=BB4_69 Depth=3
	global_load_b64 v[1:2], v3, s[76:77]
	ds_load_b64 v[4:5], v54
	s_mov_b32 s21, 0
	s_waitcnt vmcnt(0)
	v_cmp_gt_f64_e64 vcc_lo, |v[1:2]|, s[16:17]
	v_and_b32_e32 v2, 0x7fffffff, v2
	v_cndmask_b32_e32 v1, s16, v1, vcc_lo
	s_delay_alu instid0(VALU_DEP_2) | instskip(NEXT) | instid1(VALU_DEP_1)
	v_cndmask_b32_e32 v2, s17, v2, vcc_lo
	v_mul_f64 v[1:2], v[30:31], v[1:2]
	s_waitcnt lgkmcnt(0)
	s_delay_alu instid0(VALU_DEP_1) | instskip(NEXT) | instid1(VALU_DEP_1)
	v_div_scale_f64 v[6:7], null, v[4:5], v[4:5], v[1:2]
	v_rcp_f64_e32 v[34:35], v[6:7]
	s_waitcnt_depctr 0xfff
	v_fma_f64 v[36:37], -v[6:7], v[34:35], 1.0
	s_delay_alu instid0(VALU_DEP_1) | instskip(NEXT) | instid1(VALU_DEP_1)
	v_fma_f64 v[34:35], v[34:35], v[36:37], v[34:35]
	v_fma_f64 v[36:37], -v[6:7], v[34:35], 1.0
	s_delay_alu instid0(VALU_DEP_1) | instskip(SKIP_1) | instid1(VALU_DEP_1)
	v_fma_f64 v[34:35], v[34:35], v[36:37], v[34:35]
	v_div_scale_f64 v[36:37], vcc_lo, v[1:2], v[4:5], v[1:2]
	v_mul_f64 v[38:39], v[36:37], v[34:35]
	s_delay_alu instid0(VALU_DEP_1) | instskip(NEXT) | instid1(VALU_DEP_1)
	v_fma_f64 v[6:7], -v[6:7], v[38:39], v[36:37]
	v_div_fmas_f64 v[6:7], v[6:7], v[34:35], v[38:39]
	s_delay_alu instid0(VALU_DEP_1)
	v_div_fixup_f64 v[1:2], v[6:7], v[4:5], v[1:2]
	v_mov_b32_e32 v6, v0
	v_dual_mov_b32 v4, v10 :: v_dual_mov_b32 v5, v11
	.p2align	6
.LBB4_110:                              ;   Parent Loop BB4_12 Depth=1
                                        ;     Parent Loop BB4_22 Depth=2
                                        ;       Parent Loop BB4_69 Depth=3
                                        ; =>      This Inner Loop Header: Depth=4
	global_load_b64 v[34:35], v[4:5], off
	v_add_nc_u32_e32 v6, 0x100, v6
	s_delay_alu instid0(VALU_DEP_1)
	v_cmp_lt_i32_e32 vcc_lo, s72, v6
	s_or_b32 s21, vcc_lo, s21
	s_waitcnt vmcnt(0)
	v_mul_f64 v[34:35], v[1:2], v[34:35]
	global_store_b64 v[4:5], v[34:35], off
	v_add_co_u32 v4, s7, 0x800, v4
	s_delay_alu instid0(VALU_DEP_1)
	v_add_co_ci_u32_e64 v5, s7, 0, v5, s7
	s_and_not1_b32 exec_lo, exec_lo, s21
	s_cbranch_execnz .LBB4_110
.LBB4_111:                              ;   in Loop: Header=BB4_69 Depth=3
	s_or_b32 exec_lo, exec_lo, s8
	s_waitcnt_vscnt null, 0x0
	s_barrier
	buffer_gl0_inv
	s_and_saveexec_b32 s97, s2
	s_cbranch_execz .LBB4_139
; %bb.112:                              ;   in Loop: Header=BB4_69 Depth=3
	s_clause 0x1
	global_load_b128 v[4:7], v3, s[26:27]
	global_load_b64 v[1:2], v3, s[46:47]
	s_and_not1_b32 vcc_lo, exec_lo, s28
	s_mov_b64 s[84:85], s[58:59]
	s_mov_b64 s[86:87], s[56:57]
	;; [unrolled: 1-line block ×3, first 2 shown]
	s_mov_b32 s7, s73
	s_waitcnt vmcnt(1)
	v_max_f64 v[6:7], |v[6:7]|, |v[6:7]|
	s_waitcnt vmcnt(0)
	v_max_f64 v[1:2], |v[1:2]|, |v[1:2]|
	v_max_f64 v[4:5], |v[4:5]|, |v[4:5]|
	s_delay_alu instid0(VALU_DEP_2) | instskip(NEXT) | instid1(VALU_DEP_1)
	v_max_f64 v[1:2], v[6:7], v[1:2]
	v_max_f64 v[1:2], v[4:5], v[1:2]
	s_cbranch_vccnz .LBB4_114
	.p2align	6
.LBB4_113:                              ;   Parent Loop BB4_12 Depth=1
                                        ;     Parent Loop BB4_22 Depth=2
                                        ;       Parent Loop BB4_69 Depth=3
                                        ; =>      This Inner Loop Header: Depth=4
	s_clause 0x2
	global_load_b64 v[4:5], v3, s[86:87]
	global_load_b64 v[6:7], v3, s[88:89]
	;; [unrolled: 1-line block ×3, first 2 shown]
	v_max_f64 v[1:2], v[1:2], v[1:2]
	s_add_i32 s7, s7, -1
	s_add_u32 s88, s88, 8
	s_addc_u32 s89, s89, 0
	s_add_u32 s86, s86, 8
	s_addc_u32 s87, s87, 0
	;; [unrolled: 2-line block ×3, first 2 shown]
	s_cmp_lg_u32 s7, 0
	s_waitcnt vmcnt(2)
	v_max_f64 v[4:5], |v[4:5]|, |v[4:5]|
	s_waitcnt vmcnt(1)
	v_max_f64 v[6:7], |v[6:7]|, |v[6:7]|
	;; [unrolled: 2-line block ×3, first 2 shown]
	s_delay_alu instid0(VALU_DEP_3) | instskip(NEXT) | instid1(VALU_DEP_2)
	v_max_f64 v[1:2], v[1:2], v[4:5]
	v_max_f64 v[4:5], v[34:35], v[6:7]
	s_delay_alu instid0(VALU_DEP_1)
	v_max_f64 v[1:2], v[1:2], v[4:5]
	s_cbranch_scc1 .LBB4_113
.LBB4_114:                              ;   in Loop: Header=BB4_69 Depth=3
	s_mov_b32 s84, 1
	s_mov_b64 s[86:87], 0
	s_mov_b32 s7, s72
	s_mov_b64 s[88:89], s[14:15]
	s_branch .LBB4_116
.LBB4_115:                              ;   in Loop: Header=BB4_116 Depth=4
	s_add_u32 s92, s92, s86
	s_addc_u32 s93, s93, s87
	s_add_i32 s84, s84, 1
	global_load_b64 v[34:35], v3, s[92:93]
	s_add_u32 s86, s86, 8
	s_addc_u32 s87, s87, 0
	s_add_u32 s88, s88, 4
	s_addc_u32 s89, s89, 0
	s_add_i32 s7, s7, -1
	s_delay_alu instid0(SALU_CYCLE_1)
	s_cmp_lg_u32 s7, 0
	s_waitcnt vmcnt(0)
	v_fma_f64 v[4:5], -v[6:7], v[34:35], v[4:5]
	global_store_b64 v3, v[4:5], s[90:91]
	s_cbranch_scc0 .LBB4_120
.LBB4_116:                              ;   Parent Loop BB4_12 Depth=1
                                        ;     Parent Loop BB4_22 Depth=2
                                        ;       Parent Loop BB4_69 Depth=3
                                        ; =>      This Inner Loop Header: Depth=4
	global_load_b32 v4, v3, s[88:89]
	s_waitcnt vmcnt(0)
	v_cmp_ne_u32_e32 vcc_lo, 0, v4
	s_cbranch_vccz .LBB4_118
; %bb.117:                              ;   in Loop: Header=BB4_116 Depth=4
	s_add_u32 s92, s22, s86
	s_addc_u32 s93, s23, s87
	s_mov_b32 s85, 0
	global_load_b128 v[4:7], v3, s[92:93]
	s_lshl_b64 s[90:91], s[84:85], 3
	s_delay_alu instid0(SALU_CYCLE_1)
	s_add_u32 s90, s22, s90
	s_addc_u32 s91, s23, s91
	s_waitcnt vmcnt(0)
	global_store_b64 v3, v[6:7], s[92:93]
	s_mov_b64 s[92:93], s[42:43]
	s_cbranch_execnz .LBB4_115
	s_branch .LBB4_119
.LBB4_118:                              ;   in Loop: Header=BB4_116 Depth=4
                                        ; implicit-def: $sgpr90_sgpr91
                                        ; implicit-def: $vgpr4_vgpr5
	s_mov_b64 s[92:93], s[42:43]
.LBB4_119:                              ;   in Loop: Header=BB4_116 Depth=4
	s_add_u32 s92, s22, s86
	s_addc_u32 s93, s23, s87
	s_add_u32 s90, s92, 8
	s_addc_u32 s91, s93, 0
	;; [unrolled: 2-line block ×3, first 2 shown]
	s_clause 0x1
	global_load_b64 v[4:5], v3, s[92:93] offset:8
	global_load_b64 v[6:7], v3, s[98:99]
	s_mov_b64 s[92:93], s[22:23]
	s_branch .LBB4_115
.LBB4_120:                              ;   in Loop: Header=BB4_69 Depth=3
	v_mul_f64 v[1:2], v[1:2], s[16:17]
	s_delay_alu instid0(VALU_DEP_1) | instskip(SKIP_3) | instid1(VALU_DEP_2)
	v_cmp_eq_f64_e32 vcc_lo, 0, v[1:2]
	v_readfirstlane_b32 s7, v2
	v_readfirstlane_b32 s8, v1
	s_and_b32 s21, vcc_lo, exec_lo
	s_cselect_b32 s88, s17, s7
	s_delay_alu instid0(VALU_DEP_1)
	s_cselect_b32 s89, s16, s8
	s_and_b32 s90, s88, 0x7fffffff
	s_mov_b32 s91, s89
	s_mov_b32 s8, s72
	s_branch .LBB4_123
.LBB4_121:                              ;   in Loop: Header=BB4_123 Depth=4
	s_delay_alu instid0(VALU_DEP_1)
	v_dual_mov_b32 v4, v38 :: v_dual_mov_b32 v5, v39
.LBB4_122:                              ;   in Loop: Header=BB4_123 Depth=4
	s_delay_alu instid0(VALU_DEP_1) | instskip(SKIP_3) | instid1(VALU_DEP_1)
	v_div_scale_f64 v[6:7], null, v[4:5], v[4:5], v[1:2]
	s_add_i32 s7, s8, -1
	s_cmp_gt_i32 s8, 0
	s_mov_b32 s8, s7
	v_rcp_f64_e32 v[34:35], v[6:7]
	s_waitcnt_depctr 0xfff
	v_fma_f64 v[36:37], -v[6:7], v[34:35], 1.0
	s_delay_alu instid0(VALU_DEP_1) | instskip(NEXT) | instid1(VALU_DEP_1)
	v_fma_f64 v[34:35], v[34:35], v[36:37], v[34:35]
	v_fma_f64 v[36:37], -v[6:7], v[34:35], 1.0
	s_delay_alu instid0(VALU_DEP_1) | instskip(SKIP_1) | instid1(VALU_DEP_1)
	v_fma_f64 v[34:35], v[34:35], v[36:37], v[34:35]
	v_div_scale_f64 v[36:37], vcc_lo, v[1:2], v[4:5], v[1:2]
	v_mul_f64 v[38:39], v[36:37], v[34:35]
	s_delay_alu instid0(VALU_DEP_1) | instskip(NEXT) | instid1(VALU_DEP_1)
	v_fma_f64 v[6:7], -v[6:7], v[38:39], v[36:37]
	v_div_fmas_f64 v[6:7], v[6:7], v[34:35], v[38:39]
	s_delay_alu instid0(VALU_DEP_1)
	v_div_fixup_f64 v[1:2], v[6:7], v[4:5], v[1:2]
	global_store_b64 v3, v[1:2], s[84:85]
	s_cbranch_scc0 .LBB4_139
.LBB4_123:                              ;   Parent Loop BB4_12 Depth=1
                                        ;     Parent Loop BB4_22 Depth=2
                                        ;       Parent Loop BB4_69 Depth=3
                                        ; =>      This Loop Header: Depth=4
                                        ;           Child Loop BB4_130 Depth 5
	s_lshl_b64 s[86:87], s[8:9], 3
	s_delay_alu instid0(SALU_CYCLE_1)
	s_add_u32 s84, s22, s86
	s_addc_u32 s85, s23, s87
	s_cmp_ge_i32 s8, s72
	global_load_b64 v[1:2], v3, s[84:85]
	s_cbranch_scc1 .LBB4_125
; %bb.124:                              ;   in Loop: Header=BB4_123 Depth=4
	s_add_u32 s92, s46, s86
	s_addc_u32 s93, s47, s87
	s_clause 0x1
	global_load_b64 v[4:5], v3, s[92:93]
	global_load_b64 v[6:7], v3, s[84:85] offset:8
	s_waitcnt vmcnt(0)
	v_fma_f64 v[1:2], -v[4:5], v[6:7], v[1:2]
.LBB4_125:                              ;   in Loop: Header=BB4_123 Depth=4
	s_cmp_ge_i32 s8, s73
	s_cbranch_scc1 .LBB4_127
; %bb.126:                              ;   in Loop: Header=BB4_123 Depth=4
	s_add_u32 s92, s44, s86
	s_addc_u32 s93, s45, s87
	s_clause 0x1
	global_load_b64 v[4:5], v3, s[92:93]
	global_load_b64 v[6:7], v3, s[84:85] offset:16
	s_waitcnt vmcnt(0)
	v_fma_f64 v[1:2], -v[4:5], v[6:7], v[1:2]
.LBB4_127:                              ;   in Loop: Header=BB4_123 Depth=4
	s_add_u32 s86, s26, s86
	s_addc_u32 s87, s27, s87
	global_load_b64 v[4:5], v3, s[86:87]
	s_waitcnt vmcnt(0)
	v_cmp_nlt_f64_e64 s7, |v[4:5]|, 1.0
	s_delay_alu instid0(VALU_DEP_1)
	s_and_b32 vcc_lo, exec_lo, s7
	s_cbranch_vccnz .LBB4_122
; %bb.128:                              ;   in Loop: Header=BB4_123 Depth=4
	v_cmp_nle_f64_e32 vcc_lo, 0, v[4:5]
	v_mul_f64 v[6:7], |v[1:2]|, s[18:19]
	s_xor_b32 s7, s90, 0x80000000
	s_and_b32 s21, s88, 0x7fffffff
	v_dual_mov_b32 v36, v4 :: v_dual_and_b32 v37, 0x7fffffff, v5
	s_and_b32 s86, vcc_lo, exec_lo
	s_cselect_b32 s87, s7, s21
	s_cselect_b32 s86, s91, s89
	s_delay_alu instid0(SALU_CYCLE_1)
	v_dual_mov_b32 v34, s86 :: v_dual_mov_b32 v35, s87
	s_branch .LBB4_130
	.p2align	6
.LBB4_129:                              ;   in Loop: Header=BB4_130 Depth=5
	v_add_f64 v[38:39], v[4:5], v[34:35]
	v_add_f64 v[34:35], v[34:35], v[34:35]
	v_dual_mov_b32 v41, v5 :: v_dual_mov_b32 v40, v4
	s_mov_b32 s7, -1
	s_delay_alu instid0(VALU_DEP_3) | instskip(SKIP_2) | instid1(VALU_DEP_3)
	v_cmp_nlt_f64_e64 s21, |v[38:39]|, 1.0
	v_dual_mov_b32 v36, v38 :: v_dual_and_b32 v37, 0x7fffffff, v39
	v_dual_mov_b32 v4, v38 :: v_dual_mov_b32 v5, v39
	s_and_not1_b32 vcc_lo, exec_lo, s21
	s_cbranch_vccz .LBB4_137
.LBB4_130:                              ;   Parent Loop BB4_12 Depth=1
                                        ;     Parent Loop BB4_22 Depth=2
                                        ;       Parent Loop BB4_69 Depth=3
                                        ;         Parent Loop BB4_123 Depth=4
                                        ; =>        This Inner Loop Header: Depth=5
	s_delay_alu instid0(VALU_DEP_2)
	v_cmp_ngt_f64_e32 vcc_lo, s[18:19], v[36:37]
	s_cbranch_vccz .LBB4_132
; %bb.131:                              ;   in Loop: Header=BB4_130 Depth=5
	v_mul_f64 v[38:39], v[14:15], v[36:37]
	s_mov_b32 s86, 0
	s_mov_b32 s7, -1
	s_delay_alu instid0(VALU_DEP_1)
	v_cmp_gt_f64_e64 s21, |v[1:2]|, v[38:39]
	s_branch .LBB4_133
.LBB4_132:                              ;   in Loop: Header=BB4_130 Depth=5
	s_mov_b32 s86, -1
	s_mov_b32 s21, 0
                                        ; implicit-def: $sgpr7
.LBB4_133:                              ;   in Loop: Header=BB4_130 Depth=5
	v_dual_mov_b32 v39, v5 :: v_dual_mov_b32 v38, v4
	v_dual_mov_b32 v41, v5 :: v_dual_mov_b32 v40, v4
	s_and_not1_b32 vcc_lo, exec_lo, s86
	s_cbranch_vccnz .LBB4_135
; %bb.134:                              ;   in Loop: Header=BB4_130 Depth=5
	v_cmp_eq_f64_e32 vcc_lo, 0, v[4:5]
	v_cmp_gt_f64_e64 s7, v[6:7], v[36:37]
	v_dual_mov_b32 v41, v5 :: v_dual_mov_b32 v40, v4
                                        ; implicit-def: $vgpr38_vgpr39
	s_delay_alu instid0(VALU_DEP_2)
	s_or_b32 s21, vcc_lo, s7
	s_mov_b32 s7, 0
.LBB4_135:                              ;   in Loop: Header=BB4_130 Depth=5
	s_delay_alu instid0(VALU_DEP_3)
	s_and_not1_b32 vcc_lo, exec_lo, s21
	s_cbranch_vccz .LBB4_129
; %bb.136:                              ;   in Loop: Header=BB4_123 Depth=4
                                        ; implicit-def: $vgpr34_vgpr35
                                        ; implicit-def: $vgpr36_vgpr37
	v_dual_mov_b32 v4, v38 :: v_dual_mov_b32 v5, v39
.LBB4_137:                              ;   in Loop: Header=BB4_123 Depth=4
	s_and_not1_b32 vcc_lo, exec_lo, s7
	s_cbranch_vccz .LBB4_121
; %bb.138:                              ;   in Loop: Header=BB4_123 Depth=4
	v_mul_f64 v[1:2], v[14:15], v[1:2]
	v_mul_f64 v[38:39], v[14:15], v[40:41]
	s_branch .LBB4_121
.LBB4_139:                              ;   in Loop: Header=BB4_69 Depth=3
	s_or_b32 exec_lo, exec_lo, s97
	s_delay_alu instid0(SALU_CYCLE_1)
	s_and_not1_b32 vcc_lo, exec_lo, s83
	s_waitcnt_vscnt null, 0x0
	s_barrier
	buffer_gl0_inv
	s_cbranch_vccnz .LBB4_149
; %bb.140:                              ;   in Loop: Header=BB4_69 Depth=3
	s_and_b32 s7, s94, exec_lo
	s_cselect_b32 s7, s82, s63
	s_mov_b32 s63, s82
	s_cmp_eq_u32 s7, s82
	s_cbranch_scc1 .LBB4_149
; %bb.141:                              ;   in Loop: Header=BB4_69 Depth=3
	s_cmp_lt_i32 s7, s82
	s_cselect_b32 s8, -1, 0
	s_delay_alu instid0(SALU_CYCLE_1) | instskip(NEXT) | instid1(SALU_CYCLE_1)
	s_and_b32 s21, s2, s8
	s_and_saveexec_b32 s8, s21
	s_cbranch_execz .LBB4_148
; %bb.142:                              ;   in Loop: Header=BB4_69 Depth=3
	s_mul_i32 s21, s25, s7
	s_mov_b32 s63, s7
	s_add_i32 s21, s68, s21
	s_set_inst_prefetch_distance 0x1
	.p2align	6
.LBB4_143:                              ;   Parent Loop BB4_12 Depth=1
                                        ;     Parent Loop BB4_22 Depth=2
                                        ;       Parent Loop BB4_69 Depth=3
                                        ; =>      This Loop Header: Depth=4
                                        ;           Child Loop BB4_144 Depth 5
                                        ;           Child Loop BB4_146 Depth 5
	v_mov_b32_e32 v1, 0
	v_mov_b32_e32 v2, 0
	s_mov_b64 s[84:85], s[22:23]
	s_mov_b32 s86, s21
	s_mov_b32 s88, s29
.LBB4_144:                              ;   Parent Loop BB4_12 Depth=1
                                        ;     Parent Loop BB4_22 Depth=2
                                        ;       Parent Loop BB4_69 Depth=3
                                        ;         Parent Loop BB4_143 Depth=4
                                        ; =>        This Inner Loop Header: Depth=5
	s_ashr_i32 s87, s86, 31
	s_delay_alu instid0(SALU_CYCLE_1) | instskip(NEXT) | instid1(SALU_CYCLE_1)
	s_lshl_b64 s[90:91], s[86:87], 4
	s_add_u32 s90, s24, s90
	s_addc_u32 s91, s60, s91
	s_clause 0x1
	global_load_b64 v[4:5], v3, s[84:85]
	global_load_b64 v[6:7], v3, s[90:91]
	s_add_i32 s88, s88, -1
	s_add_i32 s86, s86, 1
	s_add_u32 s84, s84, 8
	s_addc_u32 s85, s85, 0
	s_cmp_lg_u32 s88, 0
	s_waitcnt vmcnt(0)
	v_fma_f64 v[1:2], v[4:5], v[6:7], v[1:2]
	s_cbranch_scc1 .LBB4_144
; %bb.145:                              ;   in Loop: Header=BB4_143 Depth=4
	s_mov_b32 s86, 0
	s_mov_b64 s[84:85], s[22:23]
	.p2align	6
.LBB4_146:                              ;   Parent Loop BB4_12 Depth=1
                                        ;     Parent Loop BB4_22 Depth=2
                                        ;       Parent Loop BB4_69 Depth=3
                                        ;         Parent Loop BB4_143 Depth=4
                                        ; =>        This Inner Loop Header: Depth=5
	s_add_i32 s88, s21, s86
	global_load_b64 v[4:5], v3, s[84:85]
	s_ashr_i32 s89, s88, 31
	s_delay_alu instid0(SALU_CYCLE_1) | instskip(NEXT) | instid1(SALU_CYCLE_1)
	s_lshl_b64 s[88:89], s[88:89], 4
	s_add_u32 s88, s24, s88
	s_addc_u32 s89, s60, s89
	s_add_i32 s86, s86, 1
	global_load_b64 v[6:7], v3, s[88:89]
	s_waitcnt vmcnt(0)
	v_fma_f64 v[4:5], -v[1:2], v[6:7], v[4:5]
	global_store_b64 v3, v[4:5], s[84:85]
	s_add_u32 s84, s84, 8
	s_addc_u32 s85, s85, 0
	s_cmp_lg_u32 s29, s86
	s_cbranch_scc1 .LBB4_146
; %bb.147:                              ;   in Loop: Header=BB4_143 Depth=4
	s_add_i32 s63, s63, 1
	s_add_i32 s21, s21, s25
	s_cmp_lt_i32 s63, s82
	s_cbranch_scc1 .LBB4_143
.LBB4_148:                              ;   in Loop: Header=BB4_69 Depth=3
	s_set_inst_prefetch_distance 0x2
	s_or_b32 exec_lo, exec_lo, s8
	s_mov_b32 s63, s7
	s_waitcnt_vscnt null, 0x0
	s_barrier
	buffer_gl0_inv
.LBB4_149:                              ;   in Loop: Header=BB4_69 Depth=3
	v_mov_b32_e32 v1, 0
	v_mov_b32_e32 v2, 0
	v_bfrev_b32_e32 v6, -2
	s_and_saveexec_b32 s8, s5
	s_cbranch_execz .LBB4_153
; %bb.150:                              ;   in Loop: Header=BB4_69 Depth=3
	v_dual_mov_b32 v1, 0 :: v_dual_mov_b32 v4, v10
	v_bfrev_b32_e32 v6, -2
	v_dual_mov_b32 v2, 0 :: v_dual_mov_b32 v5, v11
	v_mov_b32_e32 v7, v0
	s_mov_b32 s21, 0
	.p2align	6
.LBB4_151:                              ;   Parent Loop BB4_12 Depth=1
                                        ;     Parent Loop BB4_22 Depth=2
                                        ;       Parent Loop BB4_69 Depth=3
                                        ; =>      This Inner Loop Header: Depth=4
	global_load_b64 v[34:35], v[4:5], off
	v_cmp_eq_u32_e32 vcc_lo, 0x7fffffff, v6
	v_add_co_u32 v4, s7, 0x800, v4
	s_delay_alu instid0(VALU_DEP_1) | instskip(SKIP_3) | instid1(VALU_DEP_2)
	v_add_co_ci_u32_e64 v5, s7, 0, v5, s7
	s_waitcnt vmcnt(0)
	v_cmp_lt_f64_e64 s84, v[1:2], |v[34:35]|
	v_and_b32_e32 v35, 0x7fffffff, v35
	s_or_b32 vcc_lo, s84, vcc_lo
	v_dual_cndmask_b32 v1, v1, v34 :: v_dual_add_nc_u32 v36, 1, v7
	v_add_nc_u32_e32 v7, 0x100, v7
	s_delay_alu instid0(VALU_DEP_3) | instskip(NEXT) | instid1(VALU_DEP_3)
	v_cndmask_b32_e32 v2, v2, v35, vcc_lo
	v_cndmask_b32_e32 v6, v6, v36, vcc_lo
	s_delay_alu instid0(VALU_DEP_3) | instskip(NEXT) | instid1(VALU_DEP_1)
	v_cmp_lt_i32_e64 s7, s72, v7
	s_or_b32 s21, s7, s21
	s_delay_alu instid0(SALU_CYCLE_1)
	s_and_not1_b32 exec_lo, exec_lo, s21
	s_cbranch_execnz .LBB4_151
; %bb.152:                              ;   in Loop: Header=BB4_69 Depth=3
	s_or_b32 exec_lo, exec_lo, s21
.LBB4_153:                              ;   in Loop: Header=BB4_69 Depth=3
	s_delay_alu instid0(SALU_CYCLE_1)
	s_or_b32 exec_lo, exec_lo, s8
	ds_store_b64 v50, v[1:2]
	ds_store_b32 v51, v6 offset:4096
	s_waitcnt lgkmcnt(0)
	s_barrier
	buffer_gl0_inv
	s_and_saveexec_b32 s8, s0
	s_cbranch_execz .LBB4_159
; %bb.154:                              ;   in Loop: Header=BB4_69 Depth=3
	v_add_nc_u32_e32 v4, v51, v48
	s_mov_b32 s84, exec_lo
	ds_load_b32 v7, v49 offset:512
	ds_load_b64 v[4:5], v4 offset:1024
	s_waitcnt lgkmcnt(0)
	v_cmp_lt_f64_e64 s21, v[1:2], v[4:5]
	v_cmpx_nlt_f64_e32 v[1:2], v[4:5]
; %bb.155:                              ;   in Loop: Header=BB4_69 Depth=3
	v_cmp_eq_f64_e32 vcc_lo, v[1:2], v[4:5]
	v_cmp_gt_i32_e64 s7, v6, v7
	s_delay_alu instid0(VALU_DEP_4) | instskip(NEXT) | instid1(VALU_DEP_1)
	s_and_not1_b32 s21, s21, exec_lo
	s_and_b32 s7, vcc_lo, s7
	s_delay_alu instid0(SALU_CYCLE_1) | instskip(NEXT) | instid1(SALU_CYCLE_1)
	s_and_b32 s7, s7, exec_lo
	s_or_b32 s21, s21, s7
; %bb.156:                              ;   in Loop: Header=BB4_69 Depth=3
	s_or_b32 exec_lo, exec_lo, s84
	s_and_saveexec_b32 s7, s21
	s_cbranch_execz .LBB4_158
; %bb.157:                              ;   in Loop: Header=BB4_69 Depth=3
	v_dual_mov_b32 v6, v7 :: v_dual_mov_b32 v1, v4
	v_mov_b32_e32 v2, v5
	ds_store_b64 v50, v[4:5]
	ds_store_b32 v51, v7 offset:4096
.LBB4_158:                              ;   in Loop: Header=BB4_69 Depth=3
	s_or_b32 exec_lo, exec_lo, s7
.LBB4_159:                              ;   in Loop: Header=BB4_69 Depth=3
	s_delay_alu instid0(SALU_CYCLE_1)
	s_or_b32 exec_lo, exec_lo, s8
	s_waitcnt lgkmcnt(0)
	s_barrier
	buffer_gl0_inv
	s_and_saveexec_b32 s8, s1
	s_cbranch_execz .LBB4_165
; %bb.160:                              ;   in Loop: Header=BB4_69 Depth=3
	v_add_nc_u32_e32 v4, v51, v48
	s_mov_b32 s84, exec_lo
	ds_load_b32 v7, v49 offset:256
	ds_load_b64 v[4:5], v4 offset:512
	s_waitcnt lgkmcnt(0)
	v_cmp_lt_f64_e64 s21, v[1:2], v[4:5]
	v_cmpx_nlt_f64_e32 v[1:2], v[4:5]
; %bb.161:                              ;   in Loop: Header=BB4_69 Depth=3
	v_cmp_eq_f64_e32 vcc_lo, v[1:2], v[4:5]
	v_cmp_gt_i32_e64 s7, v6, v7
	s_delay_alu instid0(VALU_DEP_4) | instskip(NEXT) | instid1(VALU_DEP_1)
	s_and_not1_b32 s21, s21, exec_lo
	s_and_b32 s7, vcc_lo, s7
	s_delay_alu instid0(SALU_CYCLE_1) | instskip(NEXT) | instid1(SALU_CYCLE_1)
	s_and_b32 s7, s7, exec_lo
	s_or_b32 s21, s21, s7
; %bb.162:                              ;   in Loop: Header=BB4_69 Depth=3
	s_or_b32 exec_lo, exec_lo, s84
	s_and_saveexec_b32 s7, s21
	s_cbranch_execz .LBB4_164
; %bb.163:                              ;   in Loop: Header=BB4_69 Depth=3
	v_dual_mov_b32 v6, v7 :: v_dual_mov_b32 v1, v4
	v_mov_b32_e32 v2, v5
	ds_store_b64 v50, v[4:5]
	ds_store_b32 v51, v7 offset:4096
.LBB4_164:                              ;   in Loop: Header=BB4_69 Depth=3
	s_or_b32 exec_lo, exec_lo, s7
.LBB4_165:                              ;   in Loop: Header=BB4_69 Depth=3
	s_delay_alu instid0(SALU_CYCLE_1)
	s_or_b32 exec_lo, exec_lo, s8
	s_waitcnt lgkmcnt(0)
	s_barrier
	buffer_gl0_inv
	s_and_saveexec_b32 s84, s3
	s_cbranch_execz .LBB4_188
; %bb.166:                              ;   in Loop: Header=BB4_69 Depth=3
	v_add_nc_u32_e32 v7, v51, v48
	s_mov_b32 s21, exec_lo
	ds_load_b32 v34, v49 offset:128
	ds_load_b64 v[4:5], v7 offset:256
	s_waitcnt lgkmcnt(0)
	v_cmp_lt_f64_e64 s8, v[1:2], v[4:5]
	v_cmpx_nlt_f64_e32 v[1:2], v[4:5]
; %bb.167:                              ;   in Loop: Header=BB4_69 Depth=3
	v_cmp_eq_f64_e32 vcc_lo, v[1:2], v[4:5]
	v_cmp_gt_i32_e64 s7, v6, v34
	s_delay_alu instid0(VALU_DEP_4) | instskip(NEXT) | instid1(VALU_DEP_1)
	s_and_not1_b32 s8, s8, exec_lo
	s_and_b32 s7, vcc_lo, s7
	s_delay_alu instid0(SALU_CYCLE_1) | instskip(NEXT) | instid1(SALU_CYCLE_1)
	s_and_b32 s7, s7, exec_lo
	s_or_b32 s8, s8, s7
; %bb.168:                              ;   in Loop: Header=BB4_69 Depth=3
	s_or_b32 exec_lo, exec_lo, s21
	s_and_saveexec_b32 s7, s8
	s_cbranch_execz .LBB4_170
; %bb.169:                              ;   in Loop: Header=BB4_69 Depth=3
	v_dual_mov_b32 v1, v4 :: v_dual_mov_b32 v2, v5
	v_mov_b32_e32 v6, v34
	ds_store_b64 v50, v[4:5]
	ds_store_b32 v51, v34 offset:4096
.LBB4_170:                              ;   in Loop: Header=BB4_69 Depth=3
	s_or_b32 exec_lo, exec_lo, s7
	ds_load_b64 v[4:5], v7 offset:128
	ds_load_b32 v34, v49 offset:64
	s_mov_b32 s21, exec_lo
	s_waitcnt lgkmcnt(1)
	v_cmp_lt_f64_e64 s8, v[1:2], v[4:5]
	v_cmpx_nlt_f64_e32 v[1:2], v[4:5]
	s_cbranch_execz .LBB4_172
; %bb.171:                              ;   in Loop: Header=BB4_69 Depth=3
	v_cmp_eq_f64_e32 vcc_lo, v[1:2], v[4:5]
	s_waitcnt lgkmcnt(0)
	v_cmp_gt_i32_e64 s7, v6, v34
	s_delay_alu instid0(VALU_DEP_4) | instskip(NEXT) | instid1(VALU_DEP_1)
	s_and_not1_b32 s8, s8, exec_lo
	s_and_b32 s7, vcc_lo, s7
	s_delay_alu instid0(SALU_CYCLE_1) | instskip(NEXT) | instid1(SALU_CYCLE_1)
	s_and_b32 s7, s7, exec_lo
	s_or_b32 s8, s8, s7
.LBB4_172:                              ;   in Loop: Header=BB4_69 Depth=3
	s_or_b32 exec_lo, exec_lo, s21
	s_delay_alu instid0(VALU_DEP_2)
	s_and_saveexec_b32 s7, s8
	s_cbranch_execz .LBB4_174
; %bb.173:                              ;   in Loop: Header=BB4_69 Depth=3
	v_dual_mov_b32 v1, v4 :: v_dual_mov_b32 v2, v5
	s_waitcnt lgkmcnt(0)
	v_mov_b32_e32 v6, v34
	ds_store_b64 v50, v[4:5]
	ds_store_b32 v51, v34 offset:4096
.LBB4_174:                              ;   in Loop: Header=BB4_69 Depth=3
	s_or_b32 exec_lo, exec_lo, s7
	ds_load_b64 v[4:5], v7 offset:64
	s_waitcnt lgkmcnt(1)
	ds_load_b32 v34, v49 offset:32
	s_mov_b32 s21, exec_lo
	s_waitcnt lgkmcnt(1)
	v_cmp_lt_f64_e64 s8, v[1:2], v[4:5]
	v_cmpx_nlt_f64_e32 v[1:2], v[4:5]
	s_cbranch_execz .LBB4_176
; %bb.175:                              ;   in Loop: Header=BB4_69 Depth=3
	v_cmp_eq_f64_e32 vcc_lo, v[1:2], v[4:5]
	s_waitcnt lgkmcnt(0)
	v_cmp_gt_i32_e64 s7, v6, v34
	s_delay_alu instid0(VALU_DEP_4) | instskip(NEXT) | instid1(VALU_DEP_1)
	s_and_not1_b32 s8, s8, exec_lo
	s_and_b32 s7, vcc_lo, s7
	s_delay_alu instid0(SALU_CYCLE_1) | instskip(NEXT) | instid1(SALU_CYCLE_1)
	s_and_b32 s7, s7, exec_lo
	s_or_b32 s8, s8, s7
.LBB4_176:                              ;   in Loop: Header=BB4_69 Depth=3
	s_or_b32 exec_lo, exec_lo, s21
	s_delay_alu instid0(VALU_DEP_2)
	s_and_saveexec_b32 s7, s8
	s_cbranch_execz .LBB4_178
; %bb.177:                              ;   in Loop: Header=BB4_69 Depth=3
	v_dual_mov_b32 v1, v4 :: v_dual_mov_b32 v2, v5
	s_waitcnt lgkmcnt(0)
	v_mov_b32_e32 v6, v34
	ds_store_b64 v50, v[4:5]
	ds_store_b32 v51, v34 offset:4096
.LBB4_178:                              ;   in Loop: Header=BB4_69 Depth=3
	s_or_b32 exec_lo, exec_lo, s7
	ds_load_b64 v[4:5], v7 offset:32
	s_waitcnt lgkmcnt(1)
	;; [unrolled: 31-line block ×4, first 2 shown]
	v_cmp_eq_f64_e32 vcc_lo, v[1:2], v[4:5]
	v_cmp_lt_f64_e64 s7, v[1:2], v[4:5]
	ds_load_b32 v1, v49 offset:4
	s_waitcnt lgkmcnt(0)
	v_cmp_gt_i32_e64 s8, v6, v1
	s_delay_alu instid0(VALU_DEP_1) | instskip(NEXT) | instid1(SALU_CYCLE_1)
	s_and_b32 s8, vcc_lo, s8
	s_or_b32 s7, s7, s8
	s_delay_alu instid0(SALU_CYCLE_1)
	s_and_b32 exec_lo, exec_lo, s7
	s_cbranch_execz .LBB4_188
; %bb.187:                              ;   in Loop: Header=BB4_69 Depth=3
	ds_store_b64 v50, v[4:5]
	ds_store_b32 v51, v1 offset:4096
.LBB4_188:                              ;   in Loop: Header=BB4_69 Depth=3
	s_or_b32 exec_lo, exec_lo, s84
	s_waitcnt lgkmcnt(0)
	s_barrier
	buffer_gl0_inv
	ds_load_b64 v[1:2], v54
	s_waitcnt lgkmcnt(0)
	v_cmp_ge_f64_e32 vcc_lo, v[1:2], v[22:23]
	s_cmp_lg_u32 vcc_lo, 0
	s_addc_u32 s95, s95, 0
	s_add_i32 s7, s96, 1
	s_cmp_lt_u32 s96, 4
	s_cselect_b32 s21, -1, 0
	s_cmp_lt_u32 s95, 2
	s_cselect_b32 s8, -1, 0
	s_delay_alu instid0(SALU_CYCLE_1) | instskip(NEXT) | instid1(SALU_CYCLE_1)
	s_and_b32 s21, s21, s8
	s_and_b32 vcc_lo, exec_lo, s21
	s_cbranch_vccz .LBB4_190
; %bb.189:                              ;   in Loop: Header=BB4_69 Depth=3
	s_mov_b32 s96, s7
	s_branch .LBB4_69
.LBB4_190:                              ;   in Loop: Header=BB4_22 Depth=2
	s_and_b32 s8, s61, s8
	s_delay_alu instid0(SALU_CYCLE_1)
	s_and_saveexec_b32 s7, s8
	s_cbranch_execz .LBB4_192
; %bb.191:                              ;   in Loop: Header=BB4_22 Depth=2
	ds_load_b32 v1, v3
	s_add_i32 s8, s82, 1
	s_waitcnt lgkmcnt(0)
	v_ashrrev_i32_e32 v2, 31, v1
	s_delay_alu instid0(VALU_DEP_1) | instskip(SKIP_1) | instid1(VALU_DEP_2)
	v_lshlrev_b64 v[4:5], 2, v[1:2]
	v_dual_mov_b32 v2, s8 :: v_dual_add_nc_u32 v1, 1, v1
	v_add_co_u32 v4, vcc_lo, s34, v4
	s_delay_alu instid0(VALU_DEP_3)
	v_add_co_ci_u32_e32 v5, vcc_lo, s35, v5, vcc_lo
	flat_store_b32 v[4:5], v2
	ds_store_b32 v3, v1
.LBB4_192:                              ;   in Loop: Header=BB4_22 Depth=2
	s_or_b32 exec_lo, exec_lo, s7
	v_mov_b32_e32 v1, 0
	v_mov_b32_e32 v2, 0
	v_bfrev_b32_e32 v7, -2
	s_and_saveexec_b32 s8, s5
	s_cbranch_execz .LBB4_196
; %bb.193:                              ;   in Loop: Header=BB4_22 Depth=2
	v_dual_mov_b32 v1, 0 :: v_dual_mov_b32 v4, v10
	v_bfrev_b32_e32 v7, -2
	v_dual_mov_b32 v2, 0 :: v_dual_mov_b32 v5, v11
	v_mov_b32_e32 v6, v0
	s_mov_b32 s21, 0
	.p2align	6
.LBB4_194:                              ;   Parent Loop BB4_12 Depth=1
                                        ;     Parent Loop BB4_22 Depth=2
                                        ; =>    This Inner Loop Header: Depth=3
	global_load_b64 v[34:35], v[4:5], off
	v_cmp_eq_u32_e32 vcc_lo, 0x7fffffff, v7
	v_add_nc_u32_e32 v36, 1, v6
	v_add_co_u32 v4, s7, 0x800, v4
	s_delay_alu instid0(VALU_DEP_1) | instskip(SKIP_3) | instid1(VALU_DEP_2)
	v_add_co_ci_u32_e64 v5, s7, 0, v5, s7
	s_waitcnt vmcnt(0)
	v_cmp_lt_f64_e64 s83, v[1:2], |v[34:35]|
	v_and_b32_e32 v35, 0x7fffffff, v35
	s_or_b32 vcc_lo, s83, vcc_lo
	v_dual_cndmask_b32 v7, v7, v36 :: v_dual_add_nc_u32 v6, 0x100, v6
	s_delay_alu instid0(VALU_DEP_2) | instskip(NEXT) | instid1(VALU_DEP_2)
	v_dual_cndmask_b32 v2, v2, v35 :: v_dual_cndmask_b32 v1, v1, v34
	v_cmp_lt_i32_e64 s7, s72, v6
	s_delay_alu instid0(VALU_DEP_1) | instskip(NEXT) | instid1(SALU_CYCLE_1)
	s_or_b32 s21, s7, s21
	s_and_not1_b32 exec_lo, exec_lo, s21
	s_cbranch_execnz .LBB4_194
; %bb.195:                              ;   in Loop: Header=BB4_22 Depth=2
	s_or_b32 exec_lo, exec_lo, s21
.LBB4_196:                              ;   in Loop: Header=BB4_22 Depth=2
	s_delay_alu instid0(SALU_CYCLE_1)
	s_or_b32 exec_lo, exec_lo, s8
	v_add_nc_u32_e32 v6, v51, v48
	ds_store_b64 v50, v[1:2]
	ds_store_b32 v51, v7 offset:4096
	s_waitcnt lgkmcnt(0)
	s_waitcnt_vscnt null, 0x0
	s_barrier
	buffer_gl0_inv
	s_and_saveexec_b32 s8, s0
	s_cbranch_execz .LBB4_202
; %bb.197:                              ;   in Loop: Header=BB4_22 Depth=2
	ds_load_b64 v[4:5], v6 offset:1024
	ds_load_b32 v34, v49 offset:512
	s_mov_b32 s83, exec_lo
	s_waitcnt lgkmcnt(1)
	v_cmp_lt_f64_e64 s21, v[1:2], v[4:5]
	v_cmpx_nlt_f64_e32 v[1:2], v[4:5]
	s_cbranch_execz .LBB4_199
; %bb.198:                              ;   in Loop: Header=BB4_22 Depth=2
	v_cmp_eq_f64_e32 vcc_lo, v[1:2], v[4:5]
	s_waitcnt lgkmcnt(0)
	v_cmp_gt_i32_e64 s7, v7, v34
	s_delay_alu instid0(VALU_DEP_4) | instskip(NEXT) | instid1(VALU_DEP_1)
	s_and_not1_b32 s21, s21, exec_lo
	s_and_b32 s7, vcc_lo, s7
	s_delay_alu instid0(SALU_CYCLE_1) | instskip(NEXT) | instid1(SALU_CYCLE_1)
	s_and_b32 s7, s7, exec_lo
	s_or_b32 s21, s21, s7
.LBB4_199:                              ;   in Loop: Header=BB4_22 Depth=2
	s_or_b32 exec_lo, exec_lo, s83
	s_delay_alu instid0(VALU_DEP_2)
	s_and_saveexec_b32 s7, s21
	s_cbranch_execz .LBB4_201
; %bb.200:                              ;   in Loop: Header=BB4_22 Depth=2
	v_mov_b32_e32 v1, v4
	s_waitcnt lgkmcnt(0)
	v_dual_mov_b32 v7, v34 :: v_dual_mov_b32 v2, v5
	ds_store_b64 v50, v[4:5]
	ds_store_b32 v51, v34 offset:4096
.LBB4_201:                              ;   in Loop: Header=BB4_22 Depth=2
	s_or_b32 exec_lo, exec_lo, s7
.LBB4_202:                              ;   in Loop: Header=BB4_22 Depth=2
	s_delay_alu instid0(SALU_CYCLE_1)
	s_or_b32 exec_lo, exec_lo, s8
	s_waitcnt lgkmcnt(0)
	s_barrier
	buffer_gl0_inv
	s_and_saveexec_b32 s8, s1
	s_cbranch_execz .LBB4_208
; %bb.203:                              ;   in Loop: Header=BB4_22 Depth=2
	ds_load_b64 v[4:5], v6 offset:512
	ds_load_b32 v34, v49 offset:256
	s_mov_b32 s83, exec_lo
	s_waitcnt lgkmcnt(1)
	v_cmp_lt_f64_e64 s21, v[1:2], v[4:5]
	v_cmpx_nlt_f64_e32 v[1:2], v[4:5]
	s_cbranch_execz .LBB4_205
; %bb.204:                              ;   in Loop: Header=BB4_22 Depth=2
	v_cmp_eq_f64_e32 vcc_lo, v[1:2], v[4:5]
	s_waitcnt lgkmcnt(0)
	v_cmp_gt_i32_e64 s7, v7, v34
	s_delay_alu instid0(VALU_DEP_4) | instskip(NEXT) | instid1(VALU_DEP_1)
	s_and_not1_b32 s21, s21, exec_lo
	s_and_b32 s7, vcc_lo, s7
	s_delay_alu instid0(SALU_CYCLE_1) | instskip(NEXT) | instid1(SALU_CYCLE_1)
	s_and_b32 s7, s7, exec_lo
	s_or_b32 s21, s21, s7
.LBB4_205:                              ;   in Loop: Header=BB4_22 Depth=2
	s_or_b32 exec_lo, exec_lo, s83
	s_delay_alu instid0(VALU_DEP_2)
	s_and_saveexec_b32 s7, s21
	s_cbranch_execz .LBB4_207
; %bb.206:                              ;   in Loop: Header=BB4_22 Depth=2
	v_mov_b32_e32 v1, v4
	s_waitcnt lgkmcnt(0)
	v_dual_mov_b32 v7, v34 :: v_dual_mov_b32 v2, v5
	ds_store_b64 v50, v[4:5]
	ds_store_b32 v51, v34 offset:4096
.LBB4_207:                              ;   in Loop: Header=BB4_22 Depth=2
	s_or_b32 exec_lo, exec_lo, s7
.LBB4_208:                              ;   in Loop: Header=BB4_22 Depth=2
	s_delay_alu instid0(SALU_CYCLE_1)
	s_or_b32 exec_lo, exec_lo, s8
	s_waitcnt lgkmcnt(0)
	s_barrier
	buffer_gl0_inv
	s_and_saveexec_b32 s83, s3
	s_cbranch_execz .LBB4_231
; %bb.209:                              ;   in Loop: Header=BB4_22 Depth=2
	ds_load_b64 v[4:5], v6 offset:256
	ds_load_b32 v34, v49 offset:128
	s_mov_b32 s21, exec_lo
	s_waitcnt lgkmcnt(1)
	v_cmp_lt_f64_e64 s8, v[1:2], v[4:5]
	v_cmpx_nlt_f64_e32 v[1:2], v[4:5]
	s_cbranch_execz .LBB4_211
; %bb.210:                              ;   in Loop: Header=BB4_22 Depth=2
	v_cmp_eq_f64_e32 vcc_lo, v[1:2], v[4:5]
	s_waitcnt lgkmcnt(0)
	v_cmp_gt_i32_e64 s7, v7, v34
	s_delay_alu instid0(VALU_DEP_4) | instskip(NEXT) | instid1(VALU_DEP_1)
	s_and_not1_b32 s8, s8, exec_lo
	s_and_b32 s7, vcc_lo, s7
	s_delay_alu instid0(SALU_CYCLE_1) | instskip(NEXT) | instid1(SALU_CYCLE_1)
	s_and_b32 s7, s7, exec_lo
	s_or_b32 s8, s8, s7
.LBB4_211:                              ;   in Loop: Header=BB4_22 Depth=2
	s_or_b32 exec_lo, exec_lo, s21
	s_delay_alu instid0(VALU_DEP_2)
	s_and_saveexec_b32 s7, s8
	s_cbranch_execz .LBB4_213
; %bb.212:                              ;   in Loop: Header=BB4_22 Depth=2
	v_dual_mov_b32 v1, v4 :: v_dual_mov_b32 v2, v5
	s_waitcnt lgkmcnt(0)
	v_mov_b32_e32 v7, v34
	ds_store_b64 v50, v[4:5]
	ds_store_b32 v51, v34 offset:4096
.LBB4_213:                              ;   in Loop: Header=BB4_22 Depth=2
	s_or_b32 exec_lo, exec_lo, s7
	ds_load_b64 v[4:5], v6 offset:128
	s_waitcnt lgkmcnt(1)
	ds_load_b32 v34, v49 offset:64
	s_mov_b32 s21, exec_lo
	s_waitcnt lgkmcnt(1)
	v_cmp_lt_f64_e64 s8, v[1:2], v[4:5]
	v_cmpx_nlt_f64_e32 v[1:2], v[4:5]
	s_cbranch_execz .LBB4_215
; %bb.214:                              ;   in Loop: Header=BB4_22 Depth=2
	v_cmp_eq_f64_e32 vcc_lo, v[1:2], v[4:5]
	s_waitcnt lgkmcnt(0)
	v_cmp_gt_i32_e64 s7, v7, v34
	s_delay_alu instid0(VALU_DEP_4) | instskip(NEXT) | instid1(VALU_DEP_1)
	s_and_not1_b32 s8, s8, exec_lo
	s_and_b32 s7, vcc_lo, s7
	s_delay_alu instid0(SALU_CYCLE_1) | instskip(NEXT) | instid1(SALU_CYCLE_1)
	s_and_b32 s7, s7, exec_lo
	s_or_b32 s8, s8, s7
.LBB4_215:                              ;   in Loop: Header=BB4_22 Depth=2
	s_or_b32 exec_lo, exec_lo, s21
	s_delay_alu instid0(VALU_DEP_2)
	s_and_saveexec_b32 s7, s8
	s_cbranch_execz .LBB4_217
; %bb.216:                              ;   in Loop: Header=BB4_22 Depth=2
	v_dual_mov_b32 v1, v4 :: v_dual_mov_b32 v2, v5
	s_waitcnt lgkmcnt(0)
	v_mov_b32_e32 v7, v34
	ds_store_b64 v50, v[4:5]
	ds_store_b32 v51, v34 offset:4096
.LBB4_217:                              ;   in Loop: Header=BB4_22 Depth=2
	s_or_b32 exec_lo, exec_lo, s7
	ds_load_b64 v[4:5], v6 offset:64
	s_waitcnt lgkmcnt(1)
	;; [unrolled: 31-line block ×5, first 2 shown]
	v_cmp_eq_f64_e32 vcc_lo, v[1:2], v[4:5]
	v_cmp_lt_f64_e64 s7, v[1:2], v[4:5]
	ds_load_b32 v1, v49 offset:4
	s_waitcnt lgkmcnt(0)
	v_cmp_gt_i32_e64 s8, v7, v1
	s_delay_alu instid0(VALU_DEP_1) | instskip(NEXT) | instid1(SALU_CYCLE_1)
	s_and_b32 s8, vcc_lo, s8
	s_or_b32 s7, s7, s8
	s_delay_alu instid0(SALU_CYCLE_1)
	s_and_b32 exec_lo, exec_lo, s7
	s_cbranch_execz .LBB4_231
; %bb.230:                              ;   in Loop: Header=BB4_22 Depth=2
	ds_store_b64 v50, v[4:5]
	ds_store_b32 v51, v1 offset:4096
.LBB4_231:                              ;   in Loop: Header=BB4_22 Depth=2
	s_or_b32 exec_lo, exec_lo, s83
	v_mov_b32_e32 v1, 0
	v_mov_b32_e32 v2, 0
	s_and_saveexec_b32 s8, s5
	s_cbranch_execz .LBB4_235
; %bb.232:                              ;   in Loop: Header=BB4_22 Depth=2
	v_dual_mov_b32 v1, 0 :: v_dual_mov_b32 v4, v10
	v_dual_mov_b32 v2, 0 :: v_dual_mov_b32 v5, v11
	v_mov_b32_e32 v7, v0
	s_mov_b32 s21, 0
.LBB4_233:                              ;   Parent Loop BB4_12 Depth=1
                                        ;     Parent Loop BB4_22 Depth=2
                                        ; =>    This Inner Loop Header: Depth=3
	global_load_b64 v[34:35], v[4:5], off
	v_add_nc_u32_e32 v7, 0x100, v7
	v_add_co_u32 v4, s7, 0x800, v4
	s_delay_alu instid0(VALU_DEP_1) | instskip(NEXT) | instid1(VALU_DEP_3)
	v_add_co_ci_u32_e64 v5, s7, 0, v5, s7
	v_cmp_lt_i32_e32 vcc_lo, s72, v7
	s_or_b32 s21, vcc_lo, s21
	s_waitcnt vmcnt(0)
	v_fma_f64 v[1:2], v[34:35], v[34:35], v[1:2]
	s_and_not1_b32 exec_lo, exec_lo, s21
	s_cbranch_execnz .LBB4_233
; %bb.234:                              ;   in Loop: Header=BB4_22 Depth=2
	s_or_b32 exec_lo, exec_lo, s21
.LBB4_235:                              ;   in Loop: Header=BB4_22 Depth=2
	s_delay_alu instid0(SALU_CYCLE_1)
	s_or_b32 exec_lo, exec_lo, s8
	ds_store_b64 v6, v[1:2] offset:2048
	s_waitcnt lgkmcnt(0)
	s_barrier
	buffer_gl0_inv
	s_and_saveexec_b32 s7, s0
	s_cbranch_execz .LBB4_237
; %bb.236:                              ;   in Loop: Header=BB4_22 Depth=2
	ds_load_b64 v[4:5], v6 offset:3072
	s_waitcnt lgkmcnt(0)
	v_add_f64 v[1:2], v[1:2], v[4:5]
.LBB4_237:                              ;   in Loop: Header=BB4_22 Depth=2
	s_or_b32 exec_lo, exec_lo, s7
	s_barrier
	buffer_gl0_inv
	s_and_saveexec_b32 s7, s0
	s_cbranch_execz .LBB4_239
; %bb.238:                              ;   in Loop: Header=BB4_22 Depth=2
	ds_store_b64 v6, v[1:2] offset:2048
.LBB4_239:                              ;   in Loop: Header=BB4_22 Depth=2
	s_or_b32 exec_lo, exec_lo, s7
	s_waitcnt lgkmcnt(0)
	s_barrier
	buffer_gl0_inv
	s_and_saveexec_b32 s7, s1
	s_cbranch_execz .LBB4_241
; %bb.240:                              ;   in Loop: Header=BB4_22 Depth=2
	ds_load_b64 v[4:5], v6 offset:2560
	s_waitcnt lgkmcnt(0)
	v_add_f64 v[1:2], v[1:2], v[4:5]
.LBB4_241:                              ;   in Loop: Header=BB4_22 Depth=2
	s_or_b32 exec_lo, exec_lo, s7
	s_barrier
	buffer_gl0_inv
	s_and_saveexec_b32 s7, s1
	s_cbranch_execz .LBB4_243
; %bb.242:                              ;   in Loop: Header=BB4_22 Depth=2
	ds_store_b64 v6, v[1:2] offset:2048
.LBB4_243:                              ;   in Loop: Header=BB4_22 Depth=2
	s_or_b32 exec_lo, exec_lo, s7
	s_waitcnt lgkmcnt(0)
	s_barrier
	buffer_gl0_inv
	s_and_saveexec_b32 s7, s3
	s_cbranch_execz .LBB4_245
; %bb.244:                              ;   in Loop: Header=BB4_22 Depth=2
	v_add_nc_u32_e32 v4, 0x800, v6
	ds_load_2addr_b64 v[34:37], v4 offset1:32
	s_waitcnt lgkmcnt(0)
	v_add_f64 v[1:2], v[34:35], v[36:37]
	ds_store_b64 v6, v[1:2] offset:2048
	s_waitcnt lgkmcnt(0)
	buffer_gl1_inv
	buffer_gl0_inv
	ds_load_2addr_b64 v[34:37], v4 offset1:16
	s_waitcnt lgkmcnt(0)
	v_add_f64 v[1:2], v[34:35], v[36:37]
	ds_store_b64 v6, v[1:2] offset:2048
	s_waitcnt lgkmcnt(0)
	buffer_gl1_inv
	buffer_gl0_inv
	;; [unrolled: 7-line block ×4, first 2 shown]
	ds_load_2addr_b64 v[34:37], v4 offset1:2
	v_add_nc_u32_e32 v4, 0x800, v6
	s_waitcnt lgkmcnt(0)
	v_add_f64 v[1:2], v[34:35], v[36:37]
	ds_store_b64 v6, v[1:2] offset:2048
	s_waitcnt lgkmcnt(0)
	buffer_gl1_inv
	buffer_gl0_inv
	ds_load_2addr_b64 v[34:37], v4 offset1:1
	s_waitcnt lgkmcnt(0)
	v_add_f64 v[1:2], v[34:35], v[36:37]
	ds_store_b64 v6, v[1:2] offset:2048
	s_waitcnt lgkmcnt(0)
	buffer_gl1_inv
	buffer_gl0_inv
.LBB4_245:                              ;   in Loop: Header=BB4_22 Depth=2
	s_or_b32 exec_lo, exec_lo, s7
	s_and_saveexec_b32 s7, s2
	s_cbranch_execz .LBB4_247
; %bb.246:                              ;   in Loop: Header=BB4_22 Depth=2
	ds_load_b64 v[1:2], v54 offset:2048
	s_waitcnt lgkmcnt(0)
	v_cmp_gt_f64_e32 vcc_lo, 0x10000000, v[1:2]
	v_cndmask_b32_e64 v4, 0, 1, vcc_lo
	s_and_b32 s8, vcc_lo, exec_lo
	s_cselect_b32 s8, 0xffffff80, 0
	s_delay_alu instid0(VALU_DEP_1) | instskip(NEXT) | instid1(VALU_DEP_1)
	v_lshlrev_b32_e32 v4, 8, v4
	v_ldexp_f64 v[1:2], v[1:2], v4
	s_delay_alu instid0(VALU_DEP_1) | instskip(SKIP_4) | instid1(VALU_DEP_1)
	v_rsq_f64_e32 v[4:5], v[1:2]
	v_cmp_class_f64_e64 vcc_lo, v[1:2], 0x260
	s_waitcnt_depctr 0xfff
	v_mul_f64 v[6:7], v[1:2], v[4:5]
	v_mul_f64 v[4:5], v[4:5], 0.5
	v_fma_f64 v[34:35], -v[4:5], v[6:7], 0.5
	s_delay_alu instid0(VALU_DEP_1) | instskip(SKIP_1) | instid1(VALU_DEP_2)
	v_fma_f64 v[6:7], v[6:7], v[34:35], v[6:7]
	v_fma_f64 v[4:5], v[4:5], v[34:35], v[4:5]
	v_fma_f64 v[34:35], -v[6:7], v[6:7], v[1:2]
	s_delay_alu instid0(VALU_DEP_1) | instskip(NEXT) | instid1(VALU_DEP_1)
	v_fma_f64 v[6:7], v[34:35], v[4:5], v[6:7]
	v_fma_f64 v[34:35], -v[6:7], v[6:7], v[1:2]
	s_delay_alu instid0(VALU_DEP_1) | instskip(NEXT) | instid1(VALU_DEP_1)
	v_fma_f64 v[4:5], v[34:35], v[4:5], v[6:7]
	v_ldexp_f64 v[4:5], v[4:5], s8
	s_delay_alu instid0(VALU_DEP_1)
	v_dual_cndmask_b32 v2, v5, v2 :: v_dual_cndmask_b32 v1, v4, v1
	ds_store_b64 v54, v[1:2] offset:2048
.LBB4_247:                              ;   in Loop: Header=BB4_22 Depth=2
	s_or_b32 exec_lo, exec_lo, s7
	s_waitcnt lgkmcnt(0)
	s_barrier
	buffer_gl0_inv
	ds_load_b32 v1, v54 offset:4096
	s_waitcnt lgkmcnt(0)
	v_ashrrev_i32_e32 v2, 31, v1
	s_delay_alu instid0(VALU_DEP_1) | instskip(NEXT) | instid1(VALU_DEP_1)
	v_lshlrev_b64 v[1:2], 3, v[1:2]
	v_add_co_u32 v1, vcc_lo, s36, v1
	s_delay_alu instid0(VALU_DEP_2)
	v_add_co_ci_u32_e32 v2, vcc_lo, s37, v2, vcc_lo
	global_load_b64 v[4:5], v[1:2], off
	ds_load_b64 v[1:2], v54 offset:2048
	s_waitcnt vmcnt(0) lgkmcnt(0)
	s_barrier
	buffer_gl0_inv
	s_and_saveexec_b32 s8, s5
	s_cbranch_execz .LBB4_250
; %bb.248:                              ;   in Loop: Header=BB4_22 Depth=2
	v_cmp_nle_f64_e32 vcc_lo, 0, v[4:5]
	s_mov_b32 s84, 0
	s_and_b32 s7, vcc_lo, exec_lo
	s_mov_b32 s7, 0xbff00000
	s_delay_alu instid0(SALU_CYCLE_1) | instskip(NEXT) | instid1(SALU_CYCLE_1)
	s_cselect_b32 s85, s7, 0x3ff00000
	v_div_scale_f64 v[4:5], null, v[1:2], v[1:2], s[84:85]
	s_delay_alu instid0(VALU_DEP_1) | instskip(SKIP_2) | instid1(VALU_DEP_1)
	v_rcp_f64_e32 v[6:7], v[4:5]
	s_waitcnt_depctr 0xfff
	v_fma_f64 v[34:35], -v[4:5], v[6:7], 1.0
	v_fma_f64 v[6:7], v[6:7], v[34:35], v[6:7]
	s_delay_alu instid0(VALU_DEP_1) | instskip(NEXT) | instid1(VALU_DEP_1)
	v_fma_f64 v[34:35], -v[4:5], v[6:7], 1.0
	v_fma_f64 v[6:7], v[6:7], v[34:35], v[6:7]
	v_div_scale_f64 v[34:35], vcc_lo, s[84:85], v[1:2], s[84:85]
	s_delay_alu instid0(VALU_DEP_1) | instskip(NEXT) | instid1(VALU_DEP_1)
	v_mul_f64 v[36:37], v[34:35], v[6:7]
	v_fma_f64 v[4:5], -v[4:5], v[36:37], v[34:35]
	s_delay_alu instid0(VALU_DEP_1) | instskip(SKIP_1) | instid1(VALU_DEP_2)
	v_div_fmas_f64 v[4:5], v[4:5], v[6:7], v[36:37]
	v_mov_b32_e32 v6, v0
	v_div_fixup_f64 v[1:2], v[4:5], v[1:2], s[84:85]
	v_dual_mov_b32 v4, v10 :: v_dual_mov_b32 v5, v11
	.p2align	6
.LBB4_249:                              ;   Parent Loop BB4_12 Depth=1
                                        ;     Parent Loop BB4_22 Depth=2
                                        ; =>    This Inner Loop Header: Depth=3
	global_load_b64 v[34:35], v[4:5], off
	v_add_nc_u32_e32 v6, 0x100, v6
	s_delay_alu instid0(VALU_DEP_1)
	v_cmp_lt_i32_e32 vcc_lo, s72, v6
	s_or_b32 s84, vcc_lo, s84
	s_waitcnt vmcnt(0)
	v_mul_f64 v[34:35], v[1:2], v[34:35]
	global_store_b64 v[4:5], v[34:35], off
	v_add_co_u32 v4, s7, 0x800, v4
	s_delay_alu instid0(VALU_DEP_1)
	v_add_co_ci_u32_e64 v5, s7, 0, v5, s7
	s_and_not1_b32 exec_lo, exec_lo, s84
	s_cbranch_execnz .LBB4_249
.LBB4_250:                              ;   in Loop: Header=BB4_22 Depth=2
	s_or_b32 exec_lo, exec_lo, s8
	s_waitcnt_vscnt null, 0x0
	s_barrier
.LBB4_251:                              ;   in Loop: Header=BB4_22 Depth=2
	s_waitcnt vmcnt(0)
	s_waitcnt_vscnt null, 0x0
	buffer_gl0_inv
	s_and_saveexec_b32 s21, s4
	s_cbranch_execz .LBB4_21
; %bb.252:                              ;   in Loop: Header=BB4_22 Depth=2
	v_dual_mov_b32 v5, v32 :: v_dual_mov_b32 v6, v33
	v_mov_b32_e32 v7, v0
	s_mov_b32 s83, 0
	s_set_inst_prefetch_distance 0x1
	s_branch .LBB4_254
	.p2align	6
.LBB4_253:                              ;   in Loop: Header=BB4_254 Depth=3
	s_or_b32 exec_lo, exec_lo, s7
	v_add_nc_u32_e32 v34, s69, v7
	v_dual_mov_b32 v4, v3 :: v_dual_add_nc_u32 v7, 0x100, v7
	v_add_co_u32 v5, vcc_lo, 0x800, v5
	s_delay_alu instid0(VALU_DEP_3) | instskip(NEXT) | instid1(VALU_DEP_3)
	v_ashrrev_i32_e32 v35, 31, v34
	v_cmp_le_i32_e64 s7, s38, v7
	v_add_co_ci_u32_e32 v6, vcc_lo, 0, v6, vcc_lo
	s_delay_alu instid0(VALU_DEP_3) | instskip(NEXT) | instid1(VALU_DEP_3)
	v_lshlrev_b64 v[34:35], 4, v[34:35]
	s_or_b32 s83, s7, s83
	s_delay_alu instid0(VALU_DEP_1) | instskip(NEXT) | instid1(VALU_DEP_1)
	v_add_co_u32 v34, s8, s24, v34
	v_add_co_ci_u32_e64 v35, s8, s60, v35, s8
	s_waitcnt vmcnt(0)
	global_store_b128 v[34:35], v[1:4], off
	s_and_not1_b32 exec_lo, exec_lo, s83
	s_cbranch_execz .LBB4_21
.LBB4_254:                              ;   Parent Loop BB4_12 Depth=1
                                        ;     Parent Loop BB4_22 Depth=2
                                        ; =>    This Inner Loop Header: Depth=3
	s_delay_alu instid0(VALU_DEP_1) | instskip(SKIP_3) | instid1(VALU_DEP_3)
	v_cmp_le_i32_e32 vcc_lo, s68, v7
	v_cmp_gt_i32_e64 s7, s70, v7
	v_mov_b32_e32 v1, 0
	v_mov_b32_e32 v2, 0
	s_and_b32 s8, vcc_lo, s7
	s_delay_alu instid0(SALU_CYCLE_1)
	s_and_saveexec_b32 s7, s8
	s_cbranch_execz .LBB4_253
; %bb.255:                              ;   in Loop: Header=BB4_254 Depth=3
	global_load_b64 v[1:2], v[5:6], off
	s_branch .LBB4_253
.LBB4_256:
	s_and_saveexec_b32 s0, s2
	s_cbranch_execz .LBB4_258
; %bb.257:
	v_mov_b32_e32 v0, 0
	v_readlane_b32 s0, v62, 0
	v_readlane_b32 s1, v62, 1
	ds_load_b32 v1, v0
	s_add_u32 s0, s10, s0
	s_addc_u32 s1, s11, s1
	s_waitcnt lgkmcnt(0)
	global_store_b32 v0, v1, s[0:1]
.LBB4_258:
	s_endpgm
	.section	.rodata,"a",@progbits
	.p2align	6, 0x0
	.amdhsa_kernel _ZN9rocsolver6v33100L12stein_kernelI19rocblas_complex_numIdEdPS3_EEviPT0_lS6_lPiS6_lS7_lS7_lT1_iilS7_lS7_S6_S7_S5_S5_
		.amdhsa_group_segment_fixed_size 8
		.amdhsa_private_segment_fixed_size 0
		.amdhsa_kernarg_size 176
		.amdhsa_user_sgpr_count 14
		.amdhsa_user_sgpr_dispatch_ptr 0
		.amdhsa_user_sgpr_queue_ptr 0
		.amdhsa_user_sgpr_kernarg_segment_ptr 1
		.amdhsa_user_sgpr_dispatch_id 0
		.amdhsa_user_sgpr_private_segment_size 0
		.amdhsa_wavefront_size32 1
		.amdhsa_uses_dynamic_stack 0
		.amdhsa_enable_private_segment 0
		.amdhsa_system_sgpr_workgroup_id_x 1
		.amdhsa_system_sgpr_workgroup_id_y 1
		.amdhsa_system_sgpr_workgroup_id_z 0
		.amdhsa_system_sgpr_workgroup_info 0
		.amdhsa_system_vgpr_workitem_id 0
		.amdhsa_next_free_vgpr 63
		.amdhsa_next_free_sgpr 105
		.amdhsa_reserve_vcc 1
		.amdhsa_float_round_mode_32 0
		.amdhsa_float_round_mode_16_64 0
		.amdhsa_float_denorm_mode_32 3
		.amdhsa_float_denorm_mode_16_64 3
		.amdhsa_dx10_clamp 1
		.amdhsa_ieee_mode 1
		.amdhsa_fp16_overflow 0
		.amdhsa_workgroup_processor_mode 1
		.amdhsa_memory_ordered 1
		.amdhsa_forward_progress 0
		.amdhsa_shared_vgpr_count 0
		.amdhsa_exception_fp_ieee_invalid_op 0
		.amdhsa_exception_fp_denorm_src 0
		.amdhsa_exception_fp_ieee_div_zero 0
		.amdhsa_exception_fp_ieee_overflow 0
		.amdhsa_exception_fp_ieee_underflow 0
		.amdhsa_exception_fp_ieee_inexact 0
		.amdhsa_exception_int_div_zero 0
	.end_amdhsa_kernel
	.section	.text._ZN9rocsolver6v33100L12stein_kernelI19rocblas_complex_numIdEdPS3_EEviPT0_lS6_lPiS6_lS7_lS7_lT1_iilS7_lS7_S6_S7_S5_S5_,"axG",@progbits,_ZN9rocsolver6v33100L12stein_kernelI19rocblas_complex_numIdEdPS3_EEviPT0_lS6_lPiS6_lS7_lS7_lT1_iilS7_lS7_S6_S7_S5_S5_,comdat
.Lfunc_end4:
	.size	_ZN9rocsolver6v33100L12stein_kernelI19rocblas_complex_numIdEdPS3_EEviPT0_lS6_lPiS6_lS7_lS7_lT1_iilS7_lS7_S6_S7_S5_S5_, .Lfunc_end4-_ZN9rocsolver6v33100L12stein_kernelI19rocblas_complex_numIdEdPS3_EEviPT0_lS6_lPiS6_lS7_lS7_lT1_iilS7_lS7_S6_S7_S5_S5_
                                        ; -- End function
	.section	.AMDGPU.csdata,"",@progbits
; Kernel info:
; codeLenInByte = 12076
; NumSgprs: 107
; NumVgprs: 63
; ScratchSize: 0
; MemoryBound: 1
; FloatMode: 240
; IeeeMode: 1
; LDSByteSize: 8 bytes/workgroup (compile time only)
; SGPRBlocks: 13
; VGPRBlocks: 7
; NumSGPRsForWavesPerEU: 107
; NumVGPRsForWavesPerEU: 63
; Occupancy: 16
; WaveLimiterHint : 1
; COMPUTE_PGM_RSRC2:SCRATCH_EN: 0
; COMPUTE_PGM_RSRC2:USER_SGPR: 14
; COMPUTE_PGM_RSRC2:TRAP_HANDLER: 0
; COMPUTE_PGM_RSRC2:TGID_X_EN: 1
; COMPUTE_PGM_RSRC2:TGID_Y_EN: 1
; COMPUTE_PGM_RSRC2:TGID_Z_EN: 0
; COMPUTE_PGM_RSRC2:TIDIG_COMP_CNT: 0
	.text
	.p2alignl 7, 3214868480
	.fill 96, 4, 3214868480
	.type	__hip_cuid_8d4fff43019680e1,@object ; @__hip_cuid_8d4fff43019680e1
	.section	.bss,"aw",@nobits
	.globl	__hip_cuid_8d4fff43019680e1
__hip_cuid_8d4fff43019680e1:
	.byte	0                               ; 0x0
	.size	__hip_cuid_8d4fff43019680e1, 1

	.ident	"AMD clang version 19.0.0git (https://github.com/RadeonOpenCompute/llvm-project roc-6.4.0 25133 c7fe45cf4b819c5991fe208aaa96edf142730f1d)"
	.section	".note.GNU-stack","",@progbits
	.addrsig
	.addrsig_sym __hip_cuid_8d4fff43019680e1
	.amdgpu_metadata
---
amdhsa.kernels:
  - .args:
      - .address_space:  global
        .offset:         0
        .size:           8
        .value_kind:     global_buffer
      - .offset:         8
        .size:           4
        .value_kind:     by_value
      - .offset:         12
        .size:           4
        .value_kind:     by_value
      - .offset:         16
        .size:           4
        .value_kind:     by_value
      - .offset:         24
        .size:           4
        .value_kind:     hidden_block_count_x
      - .offset:         28
        .size:           4
        .value_kind:     hidden_block_count_y
      - .offset:         32
        .size:           4
        .value_kind:     hidden_block_count_z
      - .offset:         36
        .size:           2
        .value_kind:     hidden_group_size_x
      - .offset:         38
        .size:           2
        .value_kind:     hidden_group_size_y
      - .offset:         40
        .size:           2
        .value_kind:     hidden_group_size_z
      - .offset:         42
        .size:           2
        .value_kind:     hidden_remainder_x
      - .offset:         44
        .size:           2
        .value_kind:     hidden_remainder_y
      - .offset:         46
        .size:           2
        .value_kind:     hidden_remainder_z
      - .offset:         64
        .size:           8
        .value_kind:     hidden_global_offset_x
      - .offset:         72
        .size:           8
        .value_kind:     hidden_global_offset_y
      - .offset:         80
        .size:           8
        .value_kind:     hidden_global_offset_z
      - .offset:         88
        .size:           2
        .value_kind:     hidden_grid_dims
    .group_segment_fixed_size: 0
    .kernarg_segment_align: 8
    .kernarg_segment_size: 280
    .language:       OpenCL C
    .language_version:
      - 2
      - 0
    .max_flat_workgroup_size: 1024
    .name:           _ZN9rocsolver6v33100L10reset_infoIiiiEEvPT_T0_T1_S4_
    .private_segment_fixed_size: 0
    .sgpr_count:     18
    .sgpr_spill_count: 0
    .symbol:         _ZN9rocsolver6v33100L10reset_infoIiiiEEvPT_T0_T1_S4_.kd
    .uniform_work_group_size: 1
    .uses_dynamic_stack: false
    .vgpr_count:     6
    .vgpr_spill_count: 0
    .wavefront_size: 32
    .workgroup_processor_mode: 1
  - .args:
      - .offset:         0
        .size:           4
        .value_kind:     by_value
      - .address_space:  global
        .offset:         8
        .size:           8
        .value_kind:     global_buffer
      - .offset:         16
        .size:           8
        .value_kind:     by_value
      - .address_space:  global
        .offset:         24
        .size:           8
        .value_kind:     global_buffer
      - .offset:         32
        .size:           8
        .value_kind:     by_value
      - .address_space:  global
        .offset:         40
        .size:           8
        .value_kind:     global_buffer
      - .address_space:  global
        .offset:         48
        .size:           8
        .value_kind:     global_buffer
      - .offset:         56
        .size:           8
        .value_kind:     by_value
      - .address_space:  global
        .offset:         64
        .size:           8
        .value_kind:     global_buffer
      - .offset:         72
        .size:           8
        .value_kind:     by_value
      - .address_space:  global
        .offset:         80
        .size:           8
        .value_kind:     global_buffer
      - .offset:         88
        .size:           8
        .value_kind:     by_value
      - .address_space:  global
        .offset:         96
        .size:           8
        .value_kind:     global_buffer
      - .offset:         104
        .size:           4
        .value_kind:     by_value
      - .offset:         108
        .size:           4
        .value_kind:     by_value
      - .offset:         112
        .size:           8
        .value_kind:     by_value
      - .address_space:  global
        .offset:         120
        .size:           8
        .value_kind:     global_buffer
      - .offset:         128
        .size:           8
        .value_kind:     by_value
      - .address_space:  global
        .offset:         136
        .size:           8
        .value_kind:     global_buffer
      - .address_space:  global
        .offset:         144
        .size:           8
        .value_kind:     global_buffer
      - .address_space:  global
        .offset:         152
        .size:           8
        .value_kind:     global_buffer
      - .offset:         160
        .size:           4
        .value_kind:     by_value
      - .offset:         164
        .size:           4
        .value_kind:     by_value
    .group_segment_fixed_size: 8
    .kernarg_segment_align: 8
    .kernarg_segment_size: 168
    .language:       OpenCL C
    .language_version:
      - 2
      - 0
    .max_flat_workgroup_size: 256
    .name:           _ZN9rocsolver6v33100L12stein_kernelIffPfEEviPT0_lS4_lPiS4_lS5_lS5_lT1_iilS5_lS5_S4_S5_S3_S3_
    .private_segment_fixed_size: 0
    .sgpr_count:     107
    .sgpr_spill_count: 10
    .symbol:         _ZN9rocsolver6v33100L12stein_kernelIffPfEEviPT0_lS4_lPiS4_lS5_lS5_lT1_iilS5_lS5_S4_S5_S3_S3_.kd
    .uniform_work_group_size: 1
    .uses_dynamic_stack: false
    .vgpr_count:     45
    .vgpr_spill_count: 0
    .wavefront_size: 32
    .workgroup_processor_mode: 1
  - .args:
      - .offset:         0
        .size:           4
        .value_kind:     by_value
      - .address_space:  global
        .offset:         8
        .size:           8
        .value_kind:     global_buffer
      - .offset:         16
        .size:           8
        .value_kind:     by_value
      - .address_space:  global
        .offset:         24
        .size:           8
        .value_kind:     global_buffer
      - .offset:         32
        .size:           8
        .value_kind:     by_value
      - .address_space:  global
        .offset:         40
        .size:           8
        .value_kind:     global_buffer
      - .address_space:  global
        .offset:         48
        .size:           8
        .value_kind:     global_buffer
      - .offset:         56
        .size:           8
        .value_kind:     by_value
      - .address_space:  global
        .offset:         64
        .size:           8
        .value_kind:     global_buffer
      - .offset:         72
        .size:           8
        .value_kind:     by_value
      - .address_space:  global
        .offset:         80
        .size:           8
        .value_kind:     global_buffer
      - .offset:         88
        .size:           8
        .value_kind:     by_value
      - .address_space:  global
        .offset:         96
        .size:           8
        .value_kind:     global_buffer
      - .offset:         104
        .size:           4
        .value_kind:     by_value
      - .offset:         108
        .size:           4
        .value_kind:     by_value
      - .offset:         112
        .size:           8
        .value_kind:     by_value
      - .address_space:  global
        .offset:         120
        .size:           8
        .value_kind:     global_buffer
      - .offset:         128
        .size:           8
        .value_kind:     by_value
      - .address_space:  global
        .offset:         136
        .size:           8
        .value_kind:     global_buffer
      - .address_space:  global
        .offset:         144
        .size:           8
        .value_kind:     global_buffer
      - .address_space:  global
        .offset:         152
        .size:           8
        .value_kind:     global_buffer
      - .offset:         160
        .size:           8
        .value_kind:     by_value
      - .offset:         168
        .size:           8
        .value_kind:     by_value
    .group_segment_fixed_size: 8
    .kernarg_segment_align: 8
    .kernarg_segment_size: 176
    .language:       OpenCL C
    .language_version:
      - 2
      - 0
    .max_flat_workgroup_size: 256
    .name:           _ZN9rocsolver6v33100L12stein_kernelIddPdEEviPT0_lS4_lPiS4_lS5_lS5_lT1_iilS5_lS5_S4_S5_S3_S3_
    .private_segment_fixed_size: 0
    .sgpr_count:     107
    .sgpr_spill_count: 18
    .symbol:         _ZN9rocsolver6v33100L12stein_kernelIddPdEEviPT0_lS4_lPiS4_lS5_lS5_lT1_iilS5_lS5_S4_S5_S3_S3_.kd
    .uniform_work_group_size: 1
    .uses_dynamic_stack: false
    .vgpr_count:     62
    .vgpr_spill_count: 0
    .wavefront_size: 32
    .workgroup_processor_mode: 1
  - .args:
      - .offset:         0
        .size:           4
        .value_kind:     by_value
      - .address_space:  global
        .offset:         8
        .size:           8
        .value_kind:     global_buffer
      - .offset:         16
        .size:           8
        .value_kind:     by_value
      - .address_space:  global
        .offset:         24
        .size:           8
        .value_kind:     global_buffer
      - .offset:         32
        .size:           8
        .value_kind:     by_value
      - .address_space:  global
        .offset:         40
        .size:           8
        .value_kind:     global_buffer
      - .address_space:  global
        .offset:         48
        .size:           8
        .value_kind:     global_buffer
      - .offset:         56
        .size:           8
        .value_kind:     by_value
      - .address_space:  global
        .offset:         64
        .size:           8
        .value_kind:     global_buffer
      - .offset:         72
        .size:           8
        .value_kind:     by_value
      - .address_space:  global
        .offset:         80
        .size:           8
        .value_kind:     global_buffer
      - .offset:         88
        .size:           8
        .value_kind:     by_value
      - .address_space:  global
        .offset:         96
        .size:           8
        .value_kind:     global_buffer
      - .offset:         104
        .size:           4
        .value_kind:     by_value
      - .offset:         108
        .size:           4
        .value_kind:     by_value
      - .offset:         112
        .size:           8
        .value_kind:     by_value
      - .address_space:  global
        .offset:         120
        .size:           8
        .value_kind:     global_buffer
      - .offset:         128
        .size:           8
        .value_kind:     by_value
      - .address_space:  global
        .offset:         136
        .size:           8
        .value_kind:     global_buffer
      - .address_space:  global
        .offset:         144
        .size:           8
        .value_kind:     global_buffer
      - .address_space:  global
        .offset:         152
        .size:           8
        .value_kind:     global_buffer
      - .offset:         160
        .size:           4
        .value_kind:     by_value
      - .offset:         164
        .size:           4
        .value_kind:     by_value
    .group_segment_fixed_size: 8
    .kernarg_segment_align: 8
    .kernarg_segment_size: 168
    .language:       OpenCL C
    .language_version:
      - 2
      - 0
    .max_flat_workgroup_size: 256
    .name:           _ZN9rocsolver6v33100L12stein_kernelI19rocblas_complex_numIfEfPS3_EEviPT0_lS6_lPiS6_lS7_lS7_lT1_iilS7_lS7_S6_S7_S5_S5_
    .private_segment_fixed_size: 0
    .sgpr_count:     107
    .sgpr_spill_count: 10
    .symbol:         _ZN9rocsolver6v33100L12stein_kernelI19rocblas_complex_numIfEfPS3_EEviPT0_lS6_lPiS6_lS7_lS7_lT1_iilS7_lS7_S6_S7_S5_S5_.kd
    .uniform_work_group_size: 1
    .uses_dynamic_stack: false
    .vgpr_count:     45
    .vgpr_spill_count: 0
    .wavefront_size: 32
    .workgroup_processor_mode: 1
  - .args:
      - .offset:         0
        .size:           4
        .value_kind:     by_value
      - .address_space:  global
        .offset:         8
        .size:           8
        .value_kind:     global_buffer
      - .offset:         16
        .size:           8
        .value_kind:     by_value
      - .address_space:  global
        .offset:         24
        .size:           8
        .value_kind:     global_buffer
      - .offset:         32
        .size:           8
        .value_kind:     by_value
      - .address_space:  global
        .offset:         40
        .size:           8
        .value_kind:     global_buffer
      - .address_space:  global
        .offset:         48
        .size:           8
        .value_kind:     global_buffer
      - .offset:         56
        .size:           8
        .value_kind:     by_value
      - .address_space:  global
        .offset:         64
        .size:           8
        .value_kind:     global_buffer
      - .offset:         72
        .size:           8
        .value_kind:     by_value
      - .address_space:  global
        .offset:         80
        .size:           8
        .value_kind:     global_buffer
      - .offset:         88
        .size:           8
        .value_kind:     by_value
      - .address_space:  global
        .offset:         96
        .size:           8
        .value_kind:     global_buffer
      - .offset:         104
        .size:           4
        .value_kind:     by_value
      - .offset:         108
        .size:           4
        .value_kind:     by_value
      - .offset:         112
        .size:           8
        .value_kind:     by_value
      - .address_space:  global
        .offset:         120
        .size:           8
        .value_kind:     global_buffer
      - .offset:         128
        .size:           8
        .value_kind:     by_value
      - .address_space:  global
        .offset:         136
        .size:           8
        .value_kind:     global_buffer
      - .address_space:  global
        .offset:         144
        .size:           8
        .value_kind:     global_buffer
      - .address_space:  global
        .offset:         152
        .size:           8
        .value_kind:     global_buffer
      - .offset:         160
        .size:           8
        .value_kind:     by_value
      - .offset:         168
        .size:           8
        .value_kind:     by_value
    .group_segment_fixed_size: 8
    .kernarg_segment_align: 8
    .kernarg_segment_size: 176
    .language:       OpenCL C
    .language_version:
      - 2
      - 0
    .max_flat_workgroup_size: 256
    .name:           _ZN9rocsolver6v33100L12stein_kernelI19rocblas_complex_numIdEdPS3_EEviPT0_lS6_lPiS6_lS7_lS7_lT1_iilS7_lS7_S6_S7_S5_S5_
    .private_segment_fixed_size: 0
    .sgpr_count:     107
    .sgpr_spill_count: 18
    .symbol:         _ZN9rocsolver6v33100L12stein_kernelI19rocblas_complex_numIdEdPS3_EEviPT0_lS6_lPiS6_lS7_lS7_lT1_iilS7_lS7_S6_S7_S5_S5_.kd
    .uniform_work_group_size: 1
    .uses_dynamic_stack: false
    .vgpr_count:     63
    .vgpr_spill_count: 0
    .wavefront_size: 32
    .workgroup_processor_mode: 1
amdhsa.target:   amdgcn-amd-amdhsa--gfx1100
amdhsa.version:
  - 1
  - 2
...

	.end_amdgpu_metadata
